;; amdgpu-corpus repo=ROCm/rocFFT kind=compiled arch=gfx1100 opt=O3
	.text
	.amdgcn_target "amdgcn-amd-amdhsa--gfx1100"
	.amdhsa_code_object_version 6
	.protected	bluestein_single_back_len1183_dim1_dp_op_CI_CI ; -- Begin function bluestein_single_back_len1183_dim1_dp_op_CI_CI
	.globl	bluestein_single_back_len1183_dim1_dp_op_CI_CI
	.p2align	8
	.type	bluestein_single_back_len1183_dim1_dp_op_CI_CI,@function
bluestein_single_back_len1183_dim1_dp_op_CI_CI: ; @bluestein_single_back_len1183_dim1_dp_op_CI_CI
; %bb.0:
	s_load_b128 s[16:19], s[0:1], 0x28
	v_mul_u32_u24_e32 v1, 0x2d1, v0
	v_mov_b32_e32 v7, 0
	s_mov_b32 s2, exec_lo
	s_delay_alu instid0(VALU_DEP_2) | instskip(NEXT) | instid1(VALU_DEP_1)
	v_lshrrev_b32_e32 v30, 16, v1
	v_lshl_add_u32 v6, s15, 1, v30
	s_waitcnt lgkmcnt(0)
	s_delay_alu instid0(VALU_DEP_1)
	v_cmpx_gt_u64_e64 s[16:17], v[6:7]
	s_cbranch_execz .LBB0_15
; %bb.1:
	s_clause 0x1
	s_load_b128 s[4:7], s[0:1], 0x18
	s_load_b64 s[2:3], s[0:1], 0x0
	v_mul_lo_u16 v1, 0x5b, v30
	v_mov_b32_e32 v7, v6
	s_delay_alu instid0(VALU_DEP_2) | instskip(SKIP_2) | instid1(VALU_DEP_1)
	v_sub_nc_u16 v4, v0, v1
	scratch_store_b64 off, v[7:8], off offset:40 ; 8-byte Folded Spill
	v_and_b32_e32 v14, 0xffff, v4
	v_lshlrev_b32_e32 v5, 4, v14
	s_waitcnt lgkmcnt(0)
	s_load_b128 s[8:11], s[4:5], 0x0
	s_clause 0x1
	global_load_b128 v[20:23], v5, s[2:3]
	global_load_b128 v[24:27], v5, s[2:3] offset:2704
	v_add_co_u32 v182, s4, s2, v5
	s_delay_alu instid0(VALU_DEP_1)
	v_add_co_ci_u32_e64 v183, null, s3, 0, s4
	s_waitcnt lgkmcnt(0)
	v_mad_u64_u32 v[0:1], null, s10, v6, 0
	v_mad_u64_u32 v[2:3], null, s8, v14, 0
	s_mul_i32 s3, s9, 0xa9
	s_mul_hi_u32 s4, s8, 0xa9
	s_mul_i32 s2, s8, 0xa9
	s_add_i32 s3, s4, s3
	s_delay_alu instid0(SALU_CYCLE_1) | instskip(NEXT) | instid1(VALU_DEP_1)
	s_lshl_b64 s[12:13], s[2:3], 4
	v_mad_u64_u32 v[8:9], null, s11, v6, v[1:2]
	s_delay_alu instid0(VALU_DEP_2) | instskip(SKIP_2) | instid1(VALU_DEP_4)
	v_mad_u64_u32 v[9:10], null, s9, v14, v[3:4]
	v_add_co_u32 v10, vcc_lo, 0x1000, v182
	v_add_co_ci_u32_e32 v11, vcc_lo, 0, v183, vcc_lo
	v_mov_b32_e32 v1, v8
	v_add_co_u32 v12, vcc_lo, 0x2000, v182
	v_mov_b32_e32 v3, v9
	v_add_co_ci_u32_e32 v13, vcc_lo, 0, v183, vcc_lo
	s_delay_alu instid0(VALU_DEP_4)
	v_lshlrev_b64 v[0:1], 4, v[0:1]
	scratch_store_b64 off, v[10:11], off offset:24 ; 8-byte Folded Spill
	v_lshlrev_b64 v[2:3], 4, v[2:3]
	s_clause 0x1
	global_load_b128 v[83:86], v[10:11], off offset:1312
	global_load_b128 v[8:11], v[10:11], off offset:4016
	v_add_co_u32 v0, vcc_lo, s18, v0
	v_add_co_ci_u32_e32 v1, vcc_lo, s19, v1, vcc_lo
	s_delay_alu instid0(VALU_DEP_2) | instskip(NEXT) | instid1(VALU_DEP_2)
	v_add_co_u32 v0, vcc_lo, v0, v2
	v_add_co_ci_u32_e32 v1, vcc_lo, v1, v3, vcc_lo
	s_delay_alu instid0(VALU_DEP_2) | instskip(NEXT) | instid1(VALU_DEP_2)
	v_add_co_u32 v2, vcc_lo, v0, s12
	v_add_co_ci_u32_e32 v3, vcc_lo, s13, v1, vcc_lo
	v_add_co_u32 v6, vcc_lo, 0x3000, v182
	v_add_co_ci_u32_e32 v7, vcc_lo, 0, v183, vcc_lo
	s_delay_alu instid0(VALU_DEP_4) | instskip(NEXT) | instid1(VALU_DEP_4)
	v_add_co_u32 v16, vcc_lo, v2, s12
	v_add_co_ci_u32_e32 v17, vcc_lo, s13, v3, vcc_lo
	global_load_b128 v[31:34], v[0:1], off
	v_add_co_u32 v18, vcc_lo, v16, s12
	v_add_co_ci_u32_e32 v19, vcc_lo, s13, v17, vcc_lo
	s_clause 0x1
	global_load_b128 v[35:38], v[2:3], off
	global_load_b128 v[39:42], v[16:17], off
	v_add_co_u32 v0, vcc_lo, v18, s12
	v_add_co_ci_u32_e32 v1, vcc_lo, s13, v19, vcc_lo
	s_clause 0x1
	global_load_b128 v[43:46], v[18:19], off
	global_load_b128 v[47:50], v[0:1], off
	v_add_co_u32 v2, vcc_lo, v0, s12
	v_add_co_ci_u32_e32 v3, vcc_lo, s13, v1, vcc_lo
	scratch_store_b64 off, v[12:13], off offset:32 ; 8-byte Folded Spill
	v_add_co_u32 v28, vcc_lo, v2, s12
	v_add_co_ci_u32_e32 v29, vcc_lo, s13, v3, vcc_lo
	s_clause 0x1
	global_load_b128 v[91:94], v[12:13], off offset:2624
	global_load_b128 v[87:90], v[6:7], off offset:1232
	global_load_b128 v[51:54], v[2:3], off
	scratch_store_b64 off, v[6:7], off offset:16 ; 8-byte Folded Spill
	global_load_b128 v[15:18], v[6:7], off offset:3936
	global_load_b128 v[55:58], v[28:29], off
	s_waitcnt vmcnt(13)
	scratch_store_b128 off, v[20:23], off offset:56 ; 16-byte Folded Spill
	s_waitcnt vmcnt(12)
	scratch_store_b128 off, v[24:27], off offset:72 ; 16-byte Folded Spill
	;; [unrolled: 2-line block ×4, first 2 shown]
	s_waitcnt vmcnt(9)
	v_mul_f64 v[0:1], v[33:34], v[22:23]
	v_mul_f64 v[2:3], v[31:32], v[22:23]
	s_waitcnt vmcnt(8)
	v_mul_f64 v[59:60], v[37:38], v[26:27]
	s_waitcnt vmcnt(7)
	v_mul_f64 v[63:64], v[41:42], v[85:86]
	v_mul_f64 v[65:66], v[39:40], v[85:86]
	;; [unrolled: 1-line block ×3, first 2 shown]
	s_waitcnt vmcnt(6)
	v_mul_f64 v[67:68], v[45:46], v[10:11]
	v_mul_f64 v[69:70], v[43:44], v[10:11]
	s_waitcnt vmcnt(4)
	v_mul_f64 v[71:72], v[49:50], v[93:94]
	v_mul_f64 v[73:74], v[47:48], v[93:94]
	s_waitcnt vmcnt(2)
	v_mul_f64 v[75:76], v[53:54], v[89:90]
	v_mul_f64 v[77:78], v[51:52], v[89:90]
	s_waitcnt vmcnt(0)
	v_mul_f64 v[79:80], v[57:58], v[17:18]
	v_mul_f64 v[81:82], v[55:56], v[17:18]
	s_clause 0x2
	scratch_store_b128 off, v[91:94], off offset:152
	scratch_store_b128 off, v[87:90], off offset:136
	;; [unrolled: 1-line block ×3, first 2 shown]
	s_load_b64 s[10:11], s[0:1], 0x38
	s_load_b128 s[4:7], s[6:7], 0x0
	v_fma_f64 v[31:32], v[31:32], v[20:21], v[0:1]
	v_fma_f64 v[33:34], v[33:34], v[20:21], -v[2:3]
	v_and_b32_e32 v0, 1, v30
	v_fma_f64 v[35:36], v[35:36], v[24:25], v[59:60]
	v_fma_f64 v[39:40], v[39:40], v[83:84], v[63:64]
	v_fma_f64 v[41:42], v[41:42], v[83:84], -v[65:66]
	v_fma_f64 v[37:38], v[37:38], v[24:25], -v[61:62]
	v_cmp_eq_u32_e32 vcc_lo, 1, v0
	v_fma_f64 v[43:44], v[43:44], v[8:9], v[67:68]
	v_fma_f64 v[45:46], v[45:46], v[8:9], -v[69:70]
	v_cndmask_b32_e64 v0, 0, 0x49f, vcc_lo
	v_cmp_gt_u16_e32 vcc_lo, 0x4e, v4
	s_delay_alu instid0(VALU_DEP_2)
	v_lshlrev_b32_e32 v6, 4, v0
	v_fma_f64 v[47:48], v[47:48], v[91:92], v[71:72]
	v_fma_f64 v[49:50], v[49:50], v[91:92], -v[73:74]
	v_fma_f64 v[51:52], v[51:52], v[87:88], v[75:76]
	v_fma_f64 v[53:54], v[53:54], v[87:88], -v[77:78]
	;; [unrolled: 2-line block ×3, first 2 shown]
	v_add_nc_u32_e32 v255, v6, v5
	ds_store_b128 v255, v[31:34]
	ds_store_b128 v255, v[35:38] offset:2704
	ds_store_b128 v255, v[39:42] offset:5408
	;; [unrolled: 1-line block ×6, first 2 shown]
	s_and_saveexec_b32 s3, vcc_lo
	s_cbranch_execz .LBB0_3
; %bb.2:
	scratch_load_b64 v[4:5], off, off offset:24 ; 8-byte Folded Reload
	v_mad_u64_u32 v[0:1], null, 0xffffc650, s8, v[28:29]
	global_load_b128 v[28:31], v[182:183], off offset:1456
	s_mul_i32 s2, s9, 0xffffc650
	s_delay_alu instid0(SALU_CYCLE_1) | instskip(NEXT) | instid1(SALU_CYCLE_1)
	s_sub_i32 s2, s2, s8
	v_add_nc_u32_e32 v1, s2, v1
	v_add_co_u32 v2, s2, v0, s12
	s_delay_alu instid0(VALU_DEP_1) | instskip(NEXT) | instid1(VALU_DEP_2)
	v_add_co_ci_u32_e64 v3, s2, s13, v1, s2
	v_add_co_u32 v52, s2, v2, s12
	s_delay_alu instid0(VALU_DEP_1) | instskip(NEXT) | instid1(VALU_DEP_2)
	v_add_co_ci_u32_e64 v53, s2, s13, v3, s2
	;; [unrolled: 3-line block ×3, first 2 shown]
	v_add_co_u32 v64, s2, v56, s12
	s_delay_alu instid0(VALU_DEP_1)
	v_add_co_ci_u32_e64 v65, s2, s13, v57, s2
	s_waitcnt vmcnt(1)
	s_clause 0x1
	global_load_b128 v[32:35], v[4:5], off offset:64
	global_load_b128 v[36:39], v[4:5], off offset:2768
	scratch_load_b64 v[4:5], off, off offset:32 ; 8-byte Folded Reload
	s_waitcnt vmcnt(0)
	global_load_b128 v[40:43], v[4:5], off offset:1376
	global_load_b128 v[44:47], v[0:1], off
	global_load_b128 v[48:51], v[2:3], off
	;; [unrolled: 1-line block ×5, first 2 shown]
	v_add_co_u32 v0, s2, v64, s12
	s_delay_alu instid0(VALU_DEP_1) | instskip(SKIP_1) | instid1(VALU_DEP_1)
	v_add_co_ci_u32_e64 v1, s2, s13, v65, s2
	v_add_co_u32 v2, s2, 0x4000, v182
	v_add_co_ci_u32_e64 v3, s2, 0, v183, s2
	s_delay_alu instid0(VALU_DEP_4) | instskip(NEXT) | instid1(VALU_DEP_1)
	v_add_co_u32 v80, s2, v0, s12
	v_add_co_ci_u32_e64 v81, s2, s13, v1, s2
	global_load_b128 v[64:67], v[4:5], off offset:4080
	global_load_b128 v[68:71], v[0:1], off
	scratch_load_b64 v[0:1], off, off offset:16 ; 8-byte Folded Reload
	s_waitcnt vmcnt(0)
	s_clause 0x1
	global_load_b128 v[72:75], v[0:1], off offset:2688
	global_load_b128 v[76:79], v[2:3], off offset:1296
	global_load_b128 v[80:83], v[80:81], off
	v_mul_f64 v[0:1], v[46:47], v[30:31]
	v_mul_f64 v[2:3], v[44:45], v[30:31]
	;; [unrolled: 1-line block ×10, first 2 shown]
	v_fma_f64 v[42:43], v[44:45], v[28:29], v[0:1]
	v_fma_f64 v[44:45], v[46:47], v[28:29], -v[2:3]
	v_fma_f64 v[28:29], v[48:49], v[32:33], v[30:31]
	v_fma_f64 v[30:31], v[50:51], v[32:33], -v[34:35]
	;; [unrolled: 2-line block ×5, first 2 shown]
	s_waitcnt vmcnt(2)
	v_mul_f64 v[92:93], v[70:71], v[74:75]
	v_mul_f64 v[74:75], v[68:69], v[74:75]
	s_waitcnt vmcnt(0)
	v_mul_f64 v[94:95], v[82:83], v[78:79]
	v_mul_f64 v[78:79], v[80:81], v[78:79]
	s_delay_alu instid0(VALU_DEP_4) | instskip(NEXT) | instid1(VALU_DEP_4)
	v_fma_f64 v[50:51], v[68:69], v[72:73], v[92:93]
	v_fma_f64 v[52:53], v[70:71], v[72:73], -v[74:75]
	s_delay_alu instid0(VALU_DEP_4) | instskip(NEXT) | instid1(VALU_DEP_4)
	v_fma_f64 v[54:55], v[80:81], v[76:77], v[94:95]
	v_fma_f64 v[56:57], v[82:83], v[76:77], -v[78:79]
	ds_store_b128 v255, v[42:45] offset:1456
	ds_store_b128 v255, v[28:31] offset:4160
	;; [unrolled: 1-line block ×7, first 2 shown]
.LBB0_3:
	s_or_b32 exec_lo, exec_lo, s3
	s_waitcnt lgkmcnt(0)
	s_waitcnt_vscnt null, 0x0
	s_barrier
	buffer_gl0_inv
	ds_load_b128 v[32:35], v255
	ds_load_b128 v[36:39], v255 offset:2704
	ds_load_b128 v[52:55], v255 offset:5408
	;; [unrolled: 1-line block ×6, first 2 shown]
	s_load_b64 s[0:1], s[0:1], 0x8
	v_mov_b32_e32 v4, v6
                                        ; implicit-def: $vgpr28_vgpr29
                                        ; implicit-def: $vgpr64_vgpr65
                                        ; implicit-def: $vgpr60_vgpr61
                                        ; implicit-def: $vgpr68_vgpr69
                                        ; implicit-def: $vgpr72_vgpr73
                                        ; implicit-def: $vgpr76_vgpr77
                                        ; implicit-def: $vgpr80_vgpr81
	s_and_saveexec_b32 s2, vcc_lo
	s_cbranch_execz .LBB0_5
; %bb.4:
	ds_load_b128 v[28:31], v255 offset:1456
	ds_load_b128 v[64:67], v255 offset:4160
	;; [unrolled: 1-line block ×7, first 2 shown]
.LBB0_5:
	s_or_b32 exec_lo, exec_lo, s2
	s_waitcnt lgkmcnt(0)
	v_add_f64 v[0:1], v[36:37], v[48:49]
	v_add_f64 v[2:3], v[38:39], v[50:51]
	;; [unrolled: 1-line block ×8, first 2 shown]
	v_add_f64 v[52:53], v[52:53], -v[56:57]
	v_add_f64 v[54:55], v[54:55], -v[58:59]
	v_add_f64 v[56:57], v[40:41], v[44:45]
	v_add_f64 v[58:59], v[42:43], v[46:47]
	v_add_f64 v[44:45], v[44:45], -v[40:41]
	v_add_f64 v[46:47], v[46:47], -v[42:43]
	;; [unrolled: 1-line block ×6, first 2 shown]
	v_add_f64 v[48:49], v[68:69], v[72:73]
	v_add_f64 v[50:51], v[70:71], v[74:75]
	v_add_f64 v[64:65], v[72:73], -v[68:69]
	v_add_f64 v[66:67], v[74:75], -v[70:71]
	s_mov_b32 s14, 0x37e14327
	s_mov_b32 s8, 0x36b3c0b5
	;; [unrolled: 1-line block ×15, first 2 shown]
	v_add_f64 v[40:41], v[92:93], v[0:1]
	v_add_f64 v[42:43], v[94:95], v[2:3]
	;; [unrolled: 1-line block ×4, first 2 shown]
	v_add_f64 v[72:73], v[0:1], -v[56:57]
	v_add_f64 v[74:75], v[2:3], -v[58:59]
	;; [unrolled: 1-line block ×12, first 2 shown]
	v_add_f64 v[52:53], v[44:45], v[52:53]
	v_add_f64 v[54:55], v[46:47], v[54:55]
	;; [unrolled: 1-line block ×4, first 2 shown]
	v_add_f64 v[42:43], v[60:61], -v[76:77]
	v_add_f64 v[40:41], v[62:63], -v[78:79]
	;; [unrolled: 1-line block ×4, first 2 shown]
	v_add_f64 v[68:69], v[48:49], v[68:69]
	v_add_f64 v[70:71], v[50:51], v[70:71]
	v_add_f64 v[92:93], v[96:97], -v[44:45]
	v_add_f64 v[94:95], v[98:99], -v[46:47]
	v_mul_f64 v[72:73], v[72:73], s[14:15]
	v_mul_f64 v[74:75], v[74:75], s[14:15]
	;; [unrolled: 1-line block ×4, first 2 shown]
	v_add_f64 v[44:45], v[48:49], -v[86:87]
	v_add_f64 v[56:57], v[50:51], -v[90:91]
	v_mul_f64 v[116:117], v[100:101], s[2:3]
	v_mul_f64 v[46:47], v[110:111], s[14:15]
	;; [unrolled: 1-line block ×4, first 2 shown]
	v_add_f64 v[52:53], v[52:53], v[96:97]
	v_add_f64 v[54:55], v[54:55], v[98:99]
	;; [unrolled: 1-line block ×6, first 2 shown]
	v_mul_f64 v[124:125], v[60:61], s[8:9]
	v_mul_f64 v[126:127], v[58:59], s[8:9]
	v_add_f64 v[62:63], v[64:65], -v[42:43]
	v_add_f64 v[48:49], v[66:67], -v[40:41]
	v_mul_f64 v[32:33], v[108:109], s[14:15]
	v_mul_f64 v[34:35], v[114:115], s[18:19]
	v_add_f64 v[28:29], v[28:29], v[68:69]
	v_add_f64 v[30:31], v[30:31], v[70:71]
	s_mov_b32 s14, 0x5476071b
	s_mov_b32 s15, 0x3fe77f67
	;; [unrolled: 1-line block ×3, first 2 shown]
	v_fma_f64 v[60:61], v[60:61], s[8:9], v[72:73]
	v_fma_f64 v[58:59], v[58:59], s[8:9], v[74:75]
	;; [unrolled: 1-line block ×4, first 2 shown]
	v_fma_f64 v[80:81], v[100:101], s[2:3], -v[80:81]
	v_fma_f64 v[82:83], v[102:103], s[2:3], -v[82:83]
	v_fma_f64 v[102:103], v[0:1], s[16:17], -v[72:73]
	v_fma_f64 v[108:109], v[56:57], s[8:9], v[46:47]
	v_fma_f64 v[92:93], v[92:93], s[22:23], -v[116:117]
	v_fma_f64 v[94:95], v[94:95], s[22:23], -v[118:119]
	s_mov_b32 s18, 0x37c3f68c
	s_mov_b32 s19, 0x3fdc38aa
	v_fma_f64 v[98:99], v[104:105], s[20:21], v[76:77]
	v_fma_f64 v[100:101], v[106:107], s[20:21], v[78:79]
	v_fma_f64 v[104:105], v[2:3], s[16:17], -v[74:75]
	v_add_f64 v[74:75], v[120:121], v[38:39]
	v_fma_f64 v[0:1], v[0:1], s[14:15], -v[124:125]
	v_fma_f64 v[2:3], v[2:3], s[14:15], -v[126:127]
	v_add_f64 v[72:73], v[122:123], v[36:37]
	v_fma_f64 v[110:111], v[62:63], s[12:13], v[50:51]
	v_fma_f64 v[106:107], v[44:45], s[8:9], v[32:33]
	;; [unrolled: 1-line block ×11, first 2 shown]
	v_add_f64 v[122:123], v[60:61], v[98:99]
	v_add_f64 v[124:125], v[58:59], v[100:101]
	;; [unrolled: 1-line block ×6, first 2 shown]
	v_fma_f64 v[66:67], v[74:75], s[18:19], v[110:111]
	v_fma_f64 v[58:59], v[72:73], s[18:19], v[112:113]
	v_add_f64 v[60:61], v[106:107], v[64:65]
	v_add_f64 v[68:69], v[108:109], v[70:71]
	;; [unrolled: 1-line block ×3, first 2 shown]
	v_add_f64 v[82:83], v[124:125], -v[114:115]
	v_add_f64 v[92:93], v[126:127], v[54:55]
	v_add_f64 v[94:95], v[128:129], -v[52:53]
	v_add_f64 v[96:97], v[0:1], -v[120:121]
	v_add_f64 v[98:99], v[118:119], v[2:3]
	v_add_f64 v[100:101], v[0:1], v[120:121]
	v_add_f64 v[102:103], v[2:3], -v[118:119]
	v_add_f64 v[104:105], v[126:127], -v[54:55]
	v_add_f64 v[106:107], v[52:53], v[128:129]
	v_add_f64 v[0:1], v[60:61], -v[58:59]
	v_add_f64 v[2:3], v[66:67], v[68:69]
	;; [unrolled: 2-line block ×3, first 2 shown]
	scratch_store_b128 off, v[0:3], off     ; 16-byte Folded Spill
	v_mul_lo_u16 v0, v14, 7
	v_add_co_u32 v1, null, 0x5b, v14
	s_delay_alu instid0(VALU_DEP_1) | instskip(SKIP_1) | instid1(VALU_DEP_2)
	s_waitcnt_vscnt null, 0x0
	s_barrier
	v_and_b32_e32 v0, 0xffff, v0
	buffer_gl0_inv
	v_lshl_add_u32 v2, v0, 4, v4
	v_mul_u32_u24_e32 v0, 7, v1
	scratch_store_b32 off, v0, off offset:264 ; 4-byte Folded Spill
	ds_store_b128 v2, v[76:79]
	ds_store_b128 v2, v[80:83] offset:16
	ds_store_b128 v2, v[92:95] offset:32
	;; [unrolled: 1-line block ×5, first 2 shown]
	v_dual_mov_b32 v105, v4 :: v_dual_mov_b32 v106, v2
	ds_store_b128 v2, v[108:111] offset:96
	s_and_saveexec_b32 s20, vcc_lo
	s_cbranch_execz .LBB0_7
; %bb.6:
	v_add_f64 v[0:1], v[42:43], -v[38:39]
	v_add_f64 v[2:3], v[90:91], -v[88:89]
	v_mul_f64 v[38:39], v[56:57], s[8:9]
	v_mul_f64 v[42:43], v[62:63], s[12:13]
	v_add_f64 v[36:37], v[40:41], -v[36:37]
	v_mul_f64 v[40:41], v[44:45], s[8:9]
	s_mov_b32 s9, 0xbfebfeb5
	s_mov_b32 s8, s2
	v_mul_f64 v[44:45], v[48:49], s[12:13]
	v_mul_f64 v[48:49], v[74:75], s[18:19]
	v_add_f64 v[56:57], v[86:87], -v[84:85]
	v_mul_f64 v[62:63], v[72:73], s[18:19]
	v_fma_f64 v[50:51], v[0:1], s[8:9], -v[50:51]
	v_fma_f64 v[46:47], v[2:3], s[16:17], -v[46:47]
	;; [unrolled: 1-line block ×8, first 2 shown]
	v_add_f64 v[40:41], v[48:49], v[50:51]
	v_add_f64 v[44:45], v[46:47], v[70:71]
	;; [unrolled: 1-line block ×5, first 2 shown]
	v_add_f64 v[34:35], v[68:69], -v[66:67]
	v_add_f64 v[36:37], v[62:63], v[36:37]
	v_add_f64 v[56:57], v[32:33], v[64:65]
	;; [unrolled: 1-line block ×4, first 2 shown]
	v_add_f64 v[50:51], v[44:45], -v[40:41]
	v_add_f64 v[38:39], v[40:41], v[44:45]
	v_add_f64 v[42:43], v[2:3], -v[0:1]
	v_add_f64 v[46:47], v[0:1], v[2:3]
	scratch_load_b32 v0, off, off offset:264 ; 4-byte Folded Reload
	v_add_f64 v[48:49], v[56:57], v[70:71]
	v_add_f64 v[44:45], v[64:65], -v[36:37]
	v_add_f64 v[40:41], v[64:65], v[36:37]
	v_add_f64 v[36:37], v[56:57], -v[70:71]
	s_waitcnt vmcnt(0)
	v_lshl_add_u32 v0, v0, 4, v105
	ds_store_b128 v0, v[28:31]
	ds_store_b128 v0, v[32:35] offset:16
	ds_store_b128 v0, v[48:51] offset:32
	;; [unrolled: 1-line block ×5, first 2 shown]
	scratch_load_b128 v[1:4], off, off      ; 16-byte Folded Reload
	s_waitcnt vmcnt(0)
	ds_store_b128 v0, v[1:4] offset:96
.LBB0_7:
	s_or_b32 exec_lo, exec_lo, s20
	v_and_b32_e32 v0, 0xff, v14
	s_waitcnt lgkmcnt(0)
	s_waitcnt_vscnt null, 0x0
	s_barrier
	buffer_gl0_inv
	s_mov_b32 s26, 0x42a4c3d2
	v_mul_lo_u16 v0, v0, 37
	s_mov_b32 s27, 0xbfea55e2
	s_mov_b32 s14, 0x1ea71119
	;; [unrolled: 1-line block ×4, first 2 shown]
	v_lshrrev_b16 v0, 8, v0
	s_mov_b32 s25, 0xbfefc445
	s_mov_b32 s44, 0x4267c47c
	;; [unrolled: 1-line block ×4, first 2 shown]
	v_sub_nc_u16 v1, v14, v0
	s_mov_b32 s20, 0x24c2f84
	s_mov_b32 s18, 0x4bc48dbf
	;; [unrolled: 1-line block ×4, first 2 shown]
	v_lshrrev_b16 v1, 1, v1
	s_mov_b32 s23, 0xbfedeba7
	s_mov_b32 s21, 0xbfe5384d
	;; [unrolled: 1-line block ×4, first 2 shown]
	v_dual_mov_b32 v104, v14 :: v_dual_and_b32 v1, 0x7f, v1
	s_mov_b32 s12, 0xb2365da1
	s_mov_b32 s8, 0xd0032e0c
	;; [unrolled: 1-line block ×3, first 2 shown]
	s_delay_alu instid0(VALU_DEP_1)
	v_add_nc_u16 v0, v1, v0
	s_mov_b32 s29, 0x3fec55a7
	s_mov_b32 s13, 0xbfd6b1d8
	;; [unrolled: 1-line block ×4, first 2 shown]
	v_lshrrev_b16 v107, 2, v0
	s_mov_b32 s37, 0x3fe5384d
	s_mov_b32 s36, s20
	;; [unrolled: 1-line block ×4, first 2 shown]
	v_mul_lo_u16 v0, v107, 7
	s_mov_b32 s35, 0x3fddbe06
	s_mov_b32 s34, s44
	s_mov_b32 s43, 0x3fedeba7
	s_mov_b32 s42, s22
	v_sub_nc_u16 v0, v14, v0
	s_mov_b32 s41, 0x3fcea1e5
	s_mov_b32 s40, s18
	;; [unrolled: 1-line block ×4, first 2 shown]
	v_and_b32_e32 v186, 0xff, v0
	s_delay_alu instid0(VALU_DEP_1) | instskip(NEXT) | instid1(VALU_DEP_1)
	v_mul_u32_u24_e32 v0, 12, v186
	v_lshlrev_b32_e32 v40, 4, v0
	s_clause 0x3
	global_load_b128 v[4:7], v40, s[0:1]
	global_load_b128 v[8:11], v40, s[0:1] offset:176
	global_load_b128 v[15:18], v40, s[0:1] offset:16
	;; [unrolled: 1-line block ×3, first 2 shown]
	ds_load_b128 v[48:51], v255 offset:1456
	ds_load_b128 v[56:59], v255 offset:17472
	ds_load_b128 v[140:143], v255
	ds_load_b128 v[60:63], v255 offset:2912
	s_waitcnt vmcnt(3) lgkmcnt(3)
	v_mul_f64 v[0:1], v[50:51], v[6:7]
	v_mul_f64 v[2:3], v[48:49], v[6:7]
	s_waitcnt vmcnt(2) lgkmcnt(2)
	v_mul_f64 v[41:42], v[58:59], v[10:11]
	v_mul_f64 v[64:65], v[56:57], v[10:11]
	s_clause 0x1
	scratch_store_b128 off, v[4:7], off offset:168
	scratch_store_b128 off, v[8:11], off offset:184
	s_waitcnt vmcnt(1)
	scratch_store_b128 off, v[15:18], off offset:200 ; 16-byte Folded Spill
	v_fma_f64 v[0:1], v[48:49], v[4:5], -v[0:1]
	v_fma_f64 v[2:3], v[50:51], v[4:5], v[2:3]
	v_fma_f64 v[48:49], v[56:57], v[8:9], -v[41:42]
	v_fma_f64 v[50:51], v[58:59], v[8:9], v[64:65]
	ds_load_b128 v[56:59], v255 offset:4368
	ds_load_b128 v[68:71], v255 offset:16016
	;; [unrolled: 1-line block ×3, first 2 shown]
	s_waitcnt vmcnt(0)
	scratch_store_b128 off, v[19:22], off offset:232 ; 16-byte Folded Spill
	s_waitcnt lgkmcnt(3)
	v_mul_f64 v[41:42], v[62:63], v[17:18]
	s_clause 0x1
	global_load_b128 v[112:115], v40, s[0:1] offset:32
	global_load_b128 v[8:11], v40, s[0:1] offset:48
	v_add_f64 v[136:137], v[0:1], v[48:49]
	v_add_f64 v[164:165], v[2:3], v[50:51]
	v_fma_f64 v[64:65], v[60:61], v[15:16], -v[41:42]
	v_mul_f64 v[41:42], v[60:61], v[17:18]
	s_delay_alu instid0(VALU_DEP_1)
	v_fma_f64 v[66:67], v[62:63], v[15:16], v[41:42]
	s_clause 0x1
	global_load_b128 v[15:18], v40, s[0:1] offset:144
	global_load_b128 v[4:7], v40, s[0:1] offset:128
	s_waitcnt lgkmcnt(1)
	v_mul_f64 v[41:42], v[70:71], v[21:22]
	s_delay_alu instid0(VALU_DEP_1) | instskip(SKIP_1) | instid1(VALU_DEP_2)
	v_fma_f64 v[60:61], v[68:69], v[19:20], -v[41:42]
	v_mul_f64 v[41:42], v[68:69], v[21:22]
	v_add_f64 v[205:206], v[64:65], -v[60:61]
	s_delay_alu instid0(VALU_DEP_2) | instskip(NEXT) | instid1(VALU_DEP_2)
	v_fma_f64 v[62:63], v[70:71], v[19:20], v[41:42]
	v_mul_f64 v[249:250], v[205:206], s[22:23]
	v_mul_f64 v[187:188], v[205:206], s[36:37]
	s_waitcnt vmcnt(3)
	v_mul_f64 v[41:42], v[58:59], v[114:115]
	s_delay_alu instid0(VALU_DEP_1)
	v_fma_f64 v[72:73], v[56:57], v[112:113], -v[41:42]
	v_mul_f64 v[41:42], v[56:57], v[114:115]
	s_waitcnt vmcnt(1)
	scratch_store_b128 off, v[15:18], off offset:460 ; 16-byte Folded Spill
	v_fma_f64 v[74:75], v[58:59], v[112:113], v[41:42]
	s_waitcnt lgkmcnt(0)
	v_mul_f64 v[41:42], v[76:77], v[17:18]
	s_delay_alu instid0(VALU_DEP_1)
	v_fma_f64 v[68:69], v[78:79], v[15:16], v[41:42]
	v_mul_f64 v[41:42], v[78:79], v[17:18]
	ds_load_b128 v[78:81], v255 offset:5824
	ds_load_b128 v[82:85], v255 offset:7280
	scratch_store_b128 off, v[8:11], off offset:396 ; 16-byte Folded Spill
	v_add_f64 v[207:208], v[74:75], -v[68:69]
	v_fma_f64 v[70:71], v[76:77], v[15:16], -v[41:42]
	s_waitcnt lgkmcnt(1)
	v_mul_f64 v[41:42], v[78:79], v[10:11]
	v_add_f64 v[211:212], v[74:75], v[68:69]
	v_mul_f64 v[16:17], v[205:206], s[18:19]
	v_mul_f64 v[251:252], v[207:208], s[18:19]
	v_add_f64 v[209:210], v[72:73], -v[70:71]
	v_fma_f64 v[76:77], v[80:81], v[8:9], v[41:42]
	v_mul_f64 v[41:42], v[80:81], v[10:11]
	v_mul_f64 v[28:29], v[207:208], s[34:35]
	;; [unrolled: 1-line block ×5, first 2 shown]
	v_fma_f64 v[78:79], v[78:79], v[8:9], -v[41:42]
	s_clause 0x1
	global_load_b128 v[108:111], v40, s[0:1] offset:64
	global_load_b128 v[8:11], v40, s[0:1] offset:80
	ds_load_b128 v[96:99], v255 offset:8736
	ds_load_b128 v[120:123], v255 offset:10192
	v_mul_f64 v[20:21], v[209:210], s[42:43]
	v_mul_f64 v[88:89], v[209:210], s[26:27]
	s_delay_alu instid0(VALU_DEP_2) | instskip(NEXT) | instid1(VALU_DEP_2)
	v_fma_f64 v[22:23], v[211:212], s[12:13], v[20:21]
	v_fma_f64 v[90:91], v[211:212], s[14:15], v[88:89]
	s_waitcnt vmcnt(1) lgkmcnt(2)
	v_mul_f64 v[41:42], v[84:85], v[110:111]
	s_waitcnt vmcnt(0)
	scratch_store_b128 off, v[8:11], off offset:412 ; 16-byte Folded Spill
	v_fma_f64 v[80:81], v[82:83], v[108:109], -v[41:42]
	v_mul_f64 v[41:42], v[82:83], v[110:111]
	s_delay_alu instid0(VALU_DEP_1) | instskip(SKIP_2) | instid1(VALU_DEP_1)
	v_fma_f64 v[82:83], v[84:85], v[108:109], v[41:42]
	s_waitcnt lgkmcnt(1)
	v_mul_f64 v[41:42], v[98:99], v[10:11]
	v_fma_f64 v[84:85], v[96:97], v[8:9], -v[41:42]
	v_mul_f64 v[41:42], v[96:97], v[10:11]
	s_delay_alu instid0(VALU_DEP_1)
	v_fma_f64 v[86:87], v[98:99], v[8:9], v[41:42]
	s_clause 0x1
	global_load_b128 v[116:119], v40, s[0:1] offset:96
	global_load_b128 v[8:11], v40, s[0:1] offset:112
	s_waitcnt vmcnt(1) lgkmcnt(0)
	v_mul_f64 v[40:41], v[122:123], v[118:119]
	s_delay_alu instid0(VALU_DEP_1) | instskip(SKIP_1) | instid1(VALU_DEP_2)
	v_fma_f64 v[100:101], v[120:121], v[116:117], -v[40:41]
	v_mul_f64 v[40:41], v[120:121], v[118:119]
	v_add_f64 v[241:242], v[84:85], v[100:101]
	s_delay_alu instid0(VALU_DEP_2)
	v_fma_f64 v[102:103], v[122:123], v[116:117], v[40:41]
	ds_load_b128 v[40:43], v255 offset:11648
	ds_load_b128 v[126:129], v255 offset:13104
	s_waitcnt vmcnt(0)
	scratch_store_b128 off, v[8:11], off offset:428 ; 16-byte Folded Spill
	s_waitcnt lgkmcnt(1)
	v_mul_f64 v[120:121], v[42:43], v[10:11]
	v_add_f64 v[239:240], v[86:87], -v[102:103]
	v_add_f64 v[245:246], v[86:87], v[102:103]
	s_delay_alu instid0(VALU_DEP_3) | instskip(SKIP_1) | instid1(VALU_DEP_4)
	v_fma_f64 v[120:121], v[40:41], v[8:9], -v[120:121]
	v_mul_f64 v[40:41], v[40:41], v[10:11]
	v_mul_f64 v[243:244], v[239:240], s[18:19]
	;; [unrolled: 1-line block ×3, first 2 shown]
	s_delay_alu instid0(VALU_DEP_4) | instskip(NEXT) | instid1(VALU_DEP_4)
	v_add_f64 v[229:230], v[80:81], v[120:121]
	v_fma_f64 v[122:123], v[42:43], v[8:9], v[40:41]
	s_waitcnt lgkmcnt(0)
	v_mul_f64 v[40:41], v[126:127], v[6:7]
	v_add_f64 v[233:234], v[80:81], -v[120:121]
	v_fma_f64 v[46:47], v[241:242], s[14:15], -v[44:45]
	s_delay_alu instid0(VALU_DEP_4) | instskip(NEXT) | instid1(VALU_DEP_4)
	v_add_f64 v[227:228], v[82:83], -v[122:123]
	v_fma_f64 v[124:125], v[128:129], v[4:5], v[40:41]
	v_mul_f64 v[40:41], v[128:129], v[6:7]
	v_add_f64 v[235:236], v[82:83], v[122:123]
	v_mul_f64 v[237:238], v[233:234], s[20:21]
	v_mul_f64 v[12:13], v[233:234], s[30:31]
	;; [unrolled: 1-line block ×5, first 2 shown]
	v_add_f64 v[215:216], v[76:77], -v[124:125]
	v_fma_f64 v[126:127], v[126:127], v[4:5], -v[40:41]
	v_add_f64 v[40:41], v[2:3], -v[50:51]
	v_add_f64 v[223:224], v[76:77], v[124:125]
	v_mul_f64 v[8:9], v[227:228], s[30:31]
	v_fma_f64 v[14:15], v[235:236], s[16:17], v[12:13]
	v_fma_f64 v[54:55], v[235:236], s[14:15], v[52:53]
	v_mul_f64 v[36:37], v[227:228], s[40:41]
	v_fma_f64 v[98:99], v[235:236], s[28:29], v[96:97]
	v_mul_f64 v[219:220], v[215:216], s[22:23]
	v_add_f64 v[217:218], v[78:79], v[126:127]
	v_mul_f64 v[128:129], v[40:41], s[26:27]
	v_mul_f64 v[130:131], v[40:41], s[24:25]
	;; [unrolled: 1-line block ×6, first 2 shown]
	v_add_f64 v[221:222], v[78:79], -v[126:127]
	v_mul_f64 v[184:185], v[215:216], s[36:37]
	v_fma_f64 v[10:11], v[229:230], s[16:17], -v[8:9]
	v_mul_f64 v[32:33], v[215:216], s[24:25]
	v_fma_f64 v[38:39], v[229:230], s[2:3], -v[36:37]
	v_fma_f64 v[144:145], v[136:137], s[14:15], -v[128:129]
	v_fma_f64 v[146:147], v[136:137], s[14:15], v[128:129]
	v_add_f64 v[128:129], v[0:1], -v[48:49]
	v_fma_f64 v[148:149], v[136:137], s[16:17], -v[130:131]
	v_fma_f64 v[150:151], v[136:137], s[16:17], v[130:131]
	v_fma_f64 v[138:139], v[136:137], s[28:29], -v[42:43]
	v_fma_f64 v[42:43], v[136:137], s[28:29], v[42:43]
	;; [unrolled: 2-line block ×5, first 2 shown]
	v_add_f64 v[0:1], v[140:141], v[0:1]
	scratch_store_b128 off, v[4:7], off offset:268 ; 16-byte Folded Spill
	v_mul_f64 v[225:226], v[221:222], s[22:23]
	v_mul_f64 v[4:5], v[221:222], s[36:37]
	;; [unrolled: 1-line block ×3, first 2 shown]
	v_fma_f64 v[34:35], v[217:218], s[16:17], -v[32:33]
	v_mul_f64 v[92:93], v[221:222], s[40:41]
	v_add_f64 v[197:198], v[140:141], v[144:145]
	v_mul_f64 v[130:131], v[128:129], s[44:45]
	v_mul_f64 v[132:133], v[128:129], s[26:27]
	;; [unrolled: 1-line block ×6, first 2 shown]
	v_add_f64 v[201:202], v[140:141], v[148:149]
	v_add_f64 v[189:190], v[140:141], v[152:153]
	scratch_store_b64 off, v[0:1], off offset:48 ; 8-byte Folded Spill
	v_add_f64 v[0:1], v[140:141], v[42:43]
	v_fma_f64 v[6:7], v[223:224], s[8:9], v[4:5]
	v_fma_f64 v[26:27], v[223:224], s[28:29], v[24:25]
	v_fma_f64 v[4:5], v[223:224], s[8:9], -v[4:5]
	v_fma_f64 v[94:95], v[223:224], s[2:3], v[92:93]
	v_fma_f64 v[168:169], v[164:165], s[28:29], -v[130:131]
	v_fma_f64 v[166:167], v[164:165], s[28:29], v[130:131]
	v_fma_f64 v[170:171], v[164:165], s[14:15], v[132:133]
	v_fma_f64 v[172:173], v[164:165], s[14:15], -v[132:133]
	v_fma_f64 v[174:175], v[164:165], s[16:17], v[134:135]
	v_fma_f64 v[176:177], v[164:165], s[16:17], -v[134:135]
	;; [unrolled: 2-line block ×5, first 2 shown]
	v_add_f64 v[130:131], v[142:143], v[2:3]
	v_add_f64 v[132:133], v[140:141], v[138:139]
	;; [unrolled: 1-line block ×8, first 2 shown]
	v_add_f64 v[168:169], v[66:67], -v[62:63]
	v_add_f64 v[134:135], v[142:143], v[166:167]
	v_add_f64 v[199:200], v[142:143], v[170:171]
	;; [unrolled: 1-line block ×15, first 2 shown]
	v_mul_f64 v[166:167], v[205:206], s[26:27]
	v_add_f64 v[170:171], v[72:73], v[70:71]
	v_mul_f64 v[172:173], v[207:208], s[24:25]
	v_mul_f64 v[142:143], v[168:169], s[26:27]
	v_fma_f64 v[193:194], v[164:165], s[12:13], v[249:250]
	v_fma_f64 v[18:19], v[164:165], s[2:3], v[16:17]
	v_fma_f64 v[195:196], v[170:171], s[2:3], -v[251:252]
	v_fma_f64 v[30:31], v[170:171], s[28:29], -v[28:29]
	;; [unrolled: 1-line block ×3, first 2 shown]
	v_fma_f64 v[56:57], v[170:171], s[14:15], v[56:57]
	v_fma_f64 v[28:29], v[170:171], s[28:29], v[28:29]
	;; [unrolled: 1-line block ×3, first 2 shown]
	v_add_f64 v[193:194], v[193:194], v[199:200]
	v_add_f64 v[18:19], v[18:19], v[203:204]
	v_mul_f64 v[203:204], v[207:208], s[42:43]
	s_delay_alu instid0(VALU_DEP_4) | instskip(SKIP_1) | instid1(VALU_DEP_4)
	v_add_f64 v[0:1], v[40:41], v[0:1]
	v_fma_f64 v[40:41], v[164:165], s[14:15], -v[166:167]
	v_add_f64 v[18:19], v[22:23], v[18:19]
	v_mul_f64 v[22:23], v[215:216], s[34:35]
	s_delay_alu instid0(VALU_DEP_3) | instskip(SKIP_1) | instid1(VALU_DEP_4)
	v_add_f64 v[2:3], v[40:41], v[2:3]
	v_fma_f64 v[40:41], v[170:171], s[16:17], v[172:173]
	v_add_f64 v[18:19], v[26:27], v[18:19]
	v_mul_f64 v[26:27], v[227:228], s[26:27]
	s_delay_alu instid0(VALU_DEP_3) | instskip(SKIP_1) | instid1(VALU_DEP_4)
	v_add_f64 v[0:1], v[40:41], v[0:1]
	v_fma_f64 v[40:41], v[211:212], s[16:17], -v[213:214]
	v_add_f64 v[18:19], v[54:55], v[18:19]
	v_mul_f64 v[54:55], v[239:240], s[20:21]
	s_delay_alu instid0(VALU_DEP_3) | instskip(SKIP_1) | instid1(VALU_DEP_1)
	v_add_f64 v[2:3], v[40:41], v[2:3]
	v_fma_f64 v[40:41], v[217:218], s[12:13], v[219:220]
	v_add_f64 v[0:1], v[40:41], v[0:1]
	v_fma_f64 v[40:41], v[223:224], s[12:13], -v[225:226]
	s_delay_alu instid0(VALU_DEP_1) | instskip(SKIP_1) | instid1(VALU_DEP_1)
	v_add_f64 v[2:3], v[40:41], v[2:3]
	v_fma_f64 v[40:41], v[229:230], s[8:9], v[231:232]
	v_add_f64 v[0:1], v[40:41], v[0:1]
	v_fma_f64 v[40:41], v[235:236], s[8:9], -v[237:238]
	s_delay_alu instid0(VALU_DEP_1) | instskip(SKIP_1) | instid1(VALU_DEP_1)
	v_add_f64 v[2:3], v[40:41], v[2:3]
	v_fma_f64 v[40:41], v[241:242], s[2:3], v[243:244]
	v_add_f64 v[40:41], v[40:41], v[0:1]
	v_add_f64 v[0:1], v[84:85], -v[100:101]
	s_delay_alu instid0(VALU_DEP_1) | instskip(SKIP_1) | instid1(VALU_DEP_2)
	v_mul_f64 v[247:248], v[0:1], s[18:19]
	v_mul_f64 v[180:181], v[0:1], s[20:21]
	v_fma_f64 v[42:43], v[245:246], s[2:3], -v[247:248]
	s_delay_alu instid0(VALU_DEP_1) | instskip(SKIP_1) | instid1(VALU_DEP_1)
	v_add_f64 v[42:43], v[42:43], v[2:3]
	v_mul_f64 v[2:3], v[168:169], s[22:23]
	v_fma_f64 v[191:192], v[140:141], s[12:13], -v[2:3]
	s_delay_alu instid0(VALU_DEP_1) | instskip(SKIP_1) | instid1(VALU_DEP_2)
	v_add_f64 v[191:192], v[191:192], v[197:198]
	v_fma_f64 v[197:198], v[170:171], s[12:13], -v[203:204]
	v_add_f64 v[191:192], v[195:196], v[191:192]
	v_fma_f64 v[195:196], v[211:212], s[2:3], v[253:254]
	s_delay_alu instid0(VALU_DEP_1) | instskip(SKIP_1) | instid1(VALU_DEP_2)
	v_add_f64 v[193:194], v[195:196], v[193:194]
	v_fma_f64 v[195:196], v[217:218], s[8:9], -v[184:185]
	v_add_f64 v[6:7], v[6:7], v[193:194]
	s_delay_alu instid0(VALU_DEP_2) | instskip(NEXT) | instid1(VALU_DEP_2)
	v_add_f64 v[191:192], v[195:196], v[191:192]
	v_add_f64 v[6:7], v[14:15], v[6:7]
	v_mul_f64 v[14:15], v[239:240], s[34:35]
	s_delay_alu instid0(VALU_DEP_3) | instskip(NEXT) | instid1(VALU_DEP_2)
	v_add_f64 v[10:11], v[10:11], v[191:192]
	v_fma_f64 v[191:192], v[241:242], s[28:29], -v[14:15]
	s_delay_alu instid0(VALU_DEP_1) | instskip(SKIP_1) | instid1(VALU_DEP_1)
	v_add_f64 v[191:192], v[191:192], v[10:11]
	v_mul_f64 v[10:11], v[0:1], s[34:35]
	v_fma_f64 v[193:194], v[245:246], s[28:29], v[10:11]
	s_delay_alu instid0(VALU_DEP_1) | instskip(SKIP_1) | instid1(VALU_DEP_1)
	v_add_f64 v[193:194], v[193:194], v[6:7]
	v_mul_f64 v[6:7], v[168:169], s[18:19]
	v_fma_f64 v[195:196], v[140:141], s[2:3], -v[6:7]
	s_delay_alu instid0(VALU_DEP_1) | instskip(NEXT) | instid1(VALU_DEP_1)
	v_add_f64 v[195:196], v[195:196], v[201:202]
	v_add_f64 v[195:196], v[197:198], v[195:196]
	v_fma_f64 v[197:198], v[217:218], s[28:29], -v[22:23]
	s_delay_alu instid0(VALU_DEP_1) | instskip(SKIP_1) | instid1(VALU_DEP_1)
	v_add_f64 v[195:196], v[197:198], v[195:196]
	v_fma_f64 v[197:198], v[229:230], s[14:15], -v[26:27]
	v_add_f64 v[195:196], v[197:198], v[195:196]
	v_fma_f64 v[197:198], v[241:242], s[8:9], -v[54:55]
	s_delay_alu instid0(VALU_DEP_1) | instskip(SKIP_1) | instid1(VALU_DEP_1)
	v_add_f64 v[195:196], v[197:198], v[195:196]
	v_fma_f64 v[197:198], v[245:246], s[8:9], v[180:181]
	v_add_f64 v[197:198], v[197:198], v[18:19]
	v_mul_f64 v[18:19], v[168:169], s[36:37]
	s_delay_alu instid0(VALU_DEP_1) | instskip(NEXT) | instid1(VALU_DEP_1)
	v_fma_f64 v[199:200], v[140:141], s[8:9], -v[18:19]
	v_add_f64 v[189:190], v[199:200], v[189:190]
	v_fma_f64 v[199:200], v[164:165], s[8:9], v[187:188]
	s_delay_alu instid0(VALU_DEP_2) | instskip(SKIP_1) | instid1(VALU_DEP_3)
	v_add_f64 v[30:31], v[30:31], v[189:190]
	v_mul_f64 v[189:190], v[209:210], s[34:35]
	v_add_f64 v[178:179], v[199:200], v[178:179]
	s_delay_alu instid0(VALU_DEP_3) | instskip(NEXT) | instid1(VALU_DEP_3)
	v_add_f64 v[30:31], v[34:35], v[30:31]
	v_fma_f64 v[199:200], v[211:212], s[28:29], v[189:190]
	v_mul_f64 v[34:35], v[221:222], s[24:25]
	s_delay_alu instid0(VALU_DEP_3) | instskip(NEXT) | instid1(VALU_DEP_3)
	v_add_f64 v[30:31], v[38:39], v[30:31]
	v_add_f64 v[178:179], v[199:200], v[178:179]
	s_delay_alu instid0(VALU_DEP_3) | instskip(SKIP_1) | instid1(VALU_DEP_2)
	v_fma_f64 v[199:200], v[223:224], s[16:17], v[34:35]
	v_mul_f64 v[38:39], v[233:234], s[40:41]
	v_add_f64 v[178:179], v[199:200], v[178:179]
	s_delay_alu instid0(VALU_DEP_2) | instskip(NEXT) | instid1(VALU_DEP_1)
	v_fma_f64 v[199:200], v[235:236], s[2:3], v[38:39]
	v_add_f64 v[178:179], v[199:200], v[178:179]
	v_add_f64 v[199:200], v[46:47], v[30:31]
	v_mul_f64 v[30:31], v[0:1], s[38:39]
	s_delay_alu instid0(VALU_DEP_1) | instskip(SKIP_1) | instid1(VALU_DEP_2)
	v_fma_f64 v[46:47], v[245:246], s[14:15], v[30:31]
	v_fma_f64 v[30:31], v[245:246], s[14:15], -v[30:31]
	v_add_f64 v[201:202], v[46:47], v[178:179]
	v_mul_f64 v[46:47], v[168:169], s[30:31]
	s_delay_alu instid0(VALU_DEP_1) | instskip(NEXT) | instid1(VALU_DEP_1)
	v_fma_f64 v[178:179], v[140:141], s[16:17], -v[46:47]
	v_add_f64 v[176:177], v[178:179], v[176:177]
	v_mul_f64 v[178:179], v[205:206], s[30:31]
	s_delay_alu instid0(VALU_DEP_2) | instskip(NEXT) | instid1(VALU_DEP_2)
	v_add_f64 v[58:59], v[58:59], v[176:177]
	v_fma_f64 v[128:129], v[164:165], s[16:17], v[178:179]
	s_delay_alu instid0(VALU_DEP_1) | instskip(NEXT) | instid1(VALU_DEP_1)
	v_add_f64 v[128:129], v[128:129], v[174:175]
	v_add_f64 v[90:91], v[90:91], v[128:129]
	v_mul_f64 v[128:129], v[215:216], s[40:41]
	s_delay_alu instid0(VALU_DEP_2) | instskip(NEXT) | instid1(VALU_DEP_2)
	v_add_f64 v[90:91], v[94:95], v[90:91]
	v_fma_f64 v[174:175], v[217:218], s[2:3], -v[128:129]
	v_mul_f64 v[94:95], v[227:228], s[34:35]
	s_delay_alu instid0(VALU_DEP_3) | instskip(NEXT) | instid1(VALU_DEP_3)
	v_add_f64 v[90:91], v[98:99], v[90:91]
	v_add_f64 v[58:59], v[174:175], v[58:59]
	s_delay_alu instid0(VALU_DEP_3) | instskip(SKIP_2) | instid1(VALU_DEP_3)
	v_fma_f64 v[174:175], v[229:230], s[28:29], -v[94:95]
	v_mul_f64 v[98:99], v[239:240], s[22:23]
	v_mul_f64 v[239:240], v[239:240], s[30:31]
	v_add_f64 v[58:59], v[174:175], v[58:59]
	s_delay_alu instid0(VALU_DEP_3) | instskip(NEXT) | instid1(VALU_DEP_1)
	v_fma_f64 v[174:175], v[241:242], s[12:13], -v[98:99]
	v_add_f64 v[174:175], v[174:175], v[58:59]
	v_mul_f64 v[58:59], v[0:1], s[22:23]
	v_mul_f64 v[0:1], v[0:1], s[30:31]
	s_delay_alu instid0(VALU_DEP_2) | instskip(SKIP_1) | instid1(VALU_DEP_2)
	v_fma_f64 v[176:177], v[245:246], s[12:13], v[58:59]
	v_fma_f64 v[58:59], v[245:246], s[12:13], -v[58:59]
	v_add_f64 v[176:177], v[176:177], v[90:91]
	v_mul_f64 v[90:91], v[168:169], s[34:35]
	s_delay_alu instid0(VALU_DEP_1) | instskip(SKIP_1) | instid1(VALU_DEP_2)
	v_fma_f64 v[168:169], v[140:141], s[28:29], -v[90:91]
	v_fma_f64 v[90:91], v[140:141], s[28:29], v[90:91]
	v_add_f64 v[162:163], v[168:169], v[162:163]
	v_mul_f64 v[168:169], v[205:206], s[34:35]
	s_delay_alu instid0(VALU_DEP_3) | instskip(NEXT) | instid1(VALU_DEP_2)
	v_add_f64 v[90:91], v[90:91], v[158:159]
	v_fma_f64 v[205:206], v[164:165], s[28:29], v[168:169]
	v_fma_f64 v[158:159], v[164:165], s[28:29], -v[168:169]
	s_delay_alu instid0(VALU_DEP_2) | instskip(SKIP_1) | instid1(VALU_DEP_3)
	v_add_f64 v[160:161], v[205:206], v[160:161]
	v_mul_f64 v[205:206], v[207:208], s[20:21]
	v_add_f64 v[156:157], v[158:159], v[156:157]
	s_delay_alu instid0(VALU_DEP_2) | instskip(SKIP_1) | instid1(VALU_DEP_2)
	v_fma_f64 v[207:208], v[170:171], s[8:9], -v[205:206]
	v_fma_f64 v[158:159], v[170:171], s[8:9], v[205:206]
	v_add_f64 v[162:163], v[207:208], v[162:163]
	v_mul_f64 v[207:208], v[209:210], s[20:21]
	s_delay_alu instid0(VALU_DEP_3) | instskip(NEXT) | instid1(VALU_DEP_2)
	v_add_f64 v[90:91], v[158:159], v[90:91]
	v_fma_f64 v[209:210], v[211:212], s[8:9], v[207:208]
	v_fma_f64 v[158:159], v[211:212], s[8:9], -v[207:208]
	s_delay_alu instid0(VALU_DEP_2) | instskip(SKIP_1) | instid1(VALU_DEP_3)
	v_add_f64 v[160:161], v[209:210], v[160:161]
	v_mul_f64 v[209:210], v[215:216], s[38:39]
	v_add_f64 v[156:157], v[158:159], v[156:157]
	s_delay_alu instid0(VALU_DEP_2) | instskip(SKIP_1) | instid1(VALU_DEP_2)
	v_fma_f64 v[215:216], v[217:218], s[14:15], -v[209:210]
	v_fma_f64 v[158:159], v[217:218], s[14:15], v[209:210]
	v_add_f64 v[162:163], v[215:216], v[162:163]
	v_mul_f64 v[215:216], v[221:222], s[38:39]
	s_delay_alu instid0(VALU_DEP_3) | instskip(NEXT) | instid1(VALU_DEP_2)
	v_add_f64 v[90:91], v[158:159], v[90:91]
	v_fma_f64 v[221:222], v[223:224], s[14:15], v[215:216]
	v_fma_f64 v[158:159], v[223:224], s[14:15], -v[215:216]
	s_delay_alu instid0(VALU_DEP_2) | instskip(SKIP_1) | instid1(VALU_DEP_3)
	v_add_f64 v[160:161], v[221:222], v[160:161]
	v_mul_f64 v[221:222], v[227:228], s[22:23]
	v_add_f64 v[156:157], v[158:159], v[156:157]
	s_delay_alu instid0(VALU_DEP_2) | instskip(SKIP_1) | instid1(VALU_DEP_2)
	v_fma_f64 v[227:228], v[229:230], s[12:13], -v[221:222]
	v_fma_f64 v[158:159], v[229:230], s[12:13], v[221:222]
	v_add_f64 v[162:163], v[227:228], v[162:163]
	v_mul_f64 v[227:228], v[233:234], s[22:23]
	s_delay_alu instid0(VALU_DEP_3) | instskip(NEXT) | instid1(VALU_DEP_2)
	v_add_f64 v[90:91], v[158:159], v[90:91]
	v_fma_f64 v[233:234], v[235:236], s[12:13], v[227:228]
	v_fma_f64 v[158:159], v[235:236], s[12:13], -v[227:228]
	s_delay_alu instid0(VALU_DEP_2) | instskip(SKIP_1) | instid1(VALU_DEP_3)
	v_add_f64 v[233:234], v[233:234], v[160:161]
	v_fma_f64 v[160:161], v[241:242], s[16:17], -v[239:240]
	v_add_f64 v[158:159], v[158:159], v[156:157]
	v_fma_f64 v[156:157], v[241:242], s[16:17], v[239:240]
	s_delay_alu instid0(VALU_DEP_3) | instskip(SKIP_2) | instid1(VALU_DEP_4)
	v_add_f64 v[160:161], v[160:161], v[162:163]
	v_fma_f64 v[162:163], v[245:246], s[16:17], v[0:1]
	v_fma_f64 v[0:1], v[245:246], s[16:17], -v[0:1]
	v_add_f64 v[156:157], v[156:157], v[90:91]
	s_delay_alu instid0(VALU_DEP_3) | instskip(NEXT) | instid1(VALU_DEP_3)
	v_add_f64 v[162:163], v[162:163], v[233:234]
	v_add_f64 v[158:159], v[0:1], v[158:159]
	v_fma_f64 v[0:1], v[140:141], s[16:17], v[46:47]
	v_fma_f64 v[46:47], v[164:165], s[16:17], -v[178:179]
	s_delay_alu instid0(VALU_DEP_2) | instskip(NEXT) | instid1(VALU_DEP_2)
	v_add_f64 v[0:1], v[0:1], v[154:155]
	v_add_f64 v[46:47], v[46:47], v[152:153]
	s_delay_alu instid0(VALU_DEP_2) | instskip(SKIP_1) | instid1(VALU_DEP_1)
	v_add_f64 v[0:1], v[56:57], v[0:1]
	v_fma_f64 v[56:57], v[211:212], s[14:15], -v[88:89]
	v_add_f64 v[46:47], v[56:57], v[46:47]
	v_fma_f64 v[56:57], v[217:218], s[2:3], v[128:129]
	s_delay_alu instid0(VALU_DEP_1) | instskip(SKIP_1) | instid1(VALU_DEP_1)
	v_add_f64 v[0:1], v[56:57], v[0:1]
	v_fma_f64 v[56:57], v[223:224], s[2:3], -v[92:93]
	v_add_f64 v[46:47], v[56:57], v[46:47]
	v_fma_f64 v[56:57], v[229:230], s[28:29], v[94:95]
	s_delay_alu instid0(VALU_DEP_1) | instskip(SKIP_1) | instid1(VALU_DEP_1)
	v_add_f64 v[0:1], v[56:57], v[0:1]
	v_fma_f64 v[56:57], v[235:236], s[28:29], -v[96:97]
	v_add_f64 v[46:47], v[56:57], v[46:47]
	v_fma_f64 v[56:57], v[241:242], s[12:13], v[98:99]
	s_delay_alu instid0(VALU_DEP_2) | instskip(NEXT) | instid1(VALU_DEP_2)
	v_add_f64 v[154:155], v[58:59], v[46:47]
	v_add_f64 v[152:153], v[56:57], v[0:1]
	v_fma_f64 v[0:1], v[140:141], s[8:9], v[18:19]
	v_fma_f64 v[18:19], v[164:165], s[8:9], -v[187:188]
	s_delay_alu instid0(VALU_DEP_2) | instskip(NEXT) | instid1(VALU_DEP_2)
	v_add_f64 v[0:1], v[0:1], v[150:151]
	v_add_f64 v[18:19], v[18:19], v[148:149]
	s_delay_alu instid0(VALU_DEP_2) | instskip(SKIP_1) | instid1(VALU_DEP_1)
	v_add_f64 v[0:1], v[28:29], v[0:1]
	v_fma_f64 v[28:29], v[211:212], s[28:29], -v[189:190]
	v_add_f64 v[18:19], v[28:29], v[18:19]
	v_fma_f64 v[28:29], v[217:218], s[16:17], v[32:33]
	s_delay_alu instid0(VALU_DEP_1) | instskip(SKIP_1) | instid1(VALU_DEP_1)
	v_add_f64 v[0:1], v[28:29], v[0:1]
	v_fma_f64 v[28:29], v[223:224], s[16:17], -v[34:35]
	v_add_f64 v[18:19], v[28:29], v[18:19]
	v_fma_f64 v[28:29], v[229:230], s[2:3], v[36:37]
	s_delay_alu instid0(VALU_DEP_1) | instskip(SKIP_1) | instid1(VALU_DEP_1)
	v_add_f64 v[0:1], v[28:29], v[0:1]
	v_fma_f64 v[28:29], v[235:236], s[2:3], -v[38:39]
	v_add_f64 v[18:19], v[28:29], v[18:19]
	v_fma_f64 v[28:29], v[241:242], s[14:15], v[44:45]
	s_delay_alu instid0(VALU_DEP_2) | instskip(NEXT) | instid1(VALU_DEP_2)
	v_add_f64 v[150:151], v[30:31], v[18:19]
	v_add_f64 v[148:149], v[28:29], v[0:1]
	v_fma_f64 v[0:1], v[140:141], s[2:3], v[6:7]
	v_fma_f64 v[6:7], v[164:165], s[2:3], -v[16:17]
	v_fma_f64 v[16:17], v[170:171], s[12:13], v[203:204]
	v_fma_f64 v[18:19], v[245:246], s[8:9], -v[180:181]
	s_delay_alu instid0(VALU_DEP_4) | instskip(NEXT) | instid1(VALU_DEP_4)
	v_add_f64 v[0:1], v[0:1], v[146:147]
	v_add_f64 v[6:7], v[6:7], v[144:145]
	s_delay_alu instid0(VALU_DEP_2) | instskip(SKIP_1) | instid1(VALU_DEP_1)
	v_add_f64 v[0:1], v[16:17], v[0:1]
	v_fma_f64 v[16:17], v[211:212], s[12:13], -v[20:21]
	v_add_f64 v[6:7], v[16:17], v[6:7]
	v_fma_f64 v[16:17], v[217:218], s[28:29], v[22:23]
	s_delay_alu instid0(VALU_DEP_1) | instskip(SKIP_1) | instid1(VALU_DEP_1)
	v_add_f64 v[0:1], v[16:17], v[0:1]
	v_fma_f64 v[16:17], v[223:224], s[28:29], -v[24:25]
	v_add_f64 v[6:7], v[16:17], v[6:7]
	v_fma_f64 v[16:17], v[229:230], s[14:15], v[26:27]
	s_delay_alu instid0(VALU_DEP_1) | instskip(SKIP_1) | instid1(VALU_DEP_1)
	v_add_f64 v[0:1], v[16:17], v[0:1]
	v_fma_f64 v[16:17], v[235:236], s[14:15], -v[52:53]
	v_add_f64 v[6:7], v[16:17], v[6:7]
	v_fma_f64 v[16:17], v[241:242], s[8:9], v[54:55]
	s_delay_alu instid0(VALU_DEP_2) | instskip(NEXT) | instid1(VALU_DEP_2)
	v_add_f64 v[146:147], v[18:19], v[6:7]
	v_add_f64 v[144:145], v[16:17], v[0:1]
	v_fma_f64 v[0:1], v[140:141], s[12:13], v[2:3]
	v_fma_f64 v[2:3], v[164:165], s[12:13], -v[249:250]
	v_fma_f64 v[6:7], v[170:171], s[2:3], v[251:252]
	s_delay_alu instid0(VALU_DEP_3) | instskip(NEXT) | instid1(VALU_DEP_3)
	v_add_f64 v[0:1], v[0:1], v[138:139]
	v_add_f64 v[2:3], v[2:3], v[136:137]
	s_delay_alu instid0(VALU_DEP_2) | instskip(SKIP_1) | instid1(VALU_DEP_1)
	v_add_f64 v[0:1], v[6:7], v[0:1]
	v_fma_f64 v[6:7], v[211:212], s[2:3], -v[253:254]
	v_add_f64 v[2:3], v[6:7], v[2:3]
	v_fma_f64 v[6:7], v[217:218], s[8:9], v[184:185]
	s_delay_alu instid0(VALU_DEP_2) | instskip(NEXT) | instid1(VALU_DEP_2)
	v_add_f64 v[2:3], v[4:5], v[2:3]
	v_add_f64 v[0:1], v[6:7], v[0:1]
	v_fma_f64 v[4:5], v[229:230], s[16:17], v[8:9]
	v_fma_f64 v[8:9], v[217:218], s[12:13], -v[219:220]
	v_fma_f64 v[6:7], v[245:246], s[28:29], -v[10:11]
	v_fma_f64 v[10:11], v[223:224], s[12:13], v[225:226]
	s_delay_alu instid0(VALU_DEP_4) | instskip(SKIP_1) | instid1(VALU_DEP_1)
	v_add_f64 v[0:1], v[4:5], v[0:1]
	v_fma_f64 v[4:5], v[235:236], s[16:17], -v[12:13]
	v_add_f64 v[2:3], v[4:5], v[2:3]
	v_fma_f64 v[4:5], v[241:242], s[28:29], v[14:15]
	s_delay_alu instid0(VALU_DEP_2) | instskip(NEXT) | instid1(VALU_DEP_2)
	v_add_f64 v[138:139], v[6:7], v[2:3]
	v_add_f64 v[136:137], v[4:5], v[0:1]
	v_fma_f64 v[0:1], v[140:141], s[14:15], -v[142:143]
	v_fma_f64 v[4:5], v[170:171], s[16:17], -v[172:173]
	v_fma_f64 v[2:3], v[164:165], s[14:15], v[166:167]
	v_fma_f64 v[6:7], v[211:212], s[16:17], v[213:214]
	s_delay_alu instid0(VALU_DEP_4) | instskip(NEXT) | instid1(VALU_DEP_3)
	v_add_f64 v[0:1], v[0:1], v[132:133]
	v_add_f64 v[2:3], v[2:3], v[134:135]
	s_delay_alu instid0(VALU_DEP_2) | instskip(SKIP_1) | instid1(VALU_DEP_3)
	v_add_f64 v[0:1], v[4:5], v[0:1]
	v_fma_f64 v[4:5], v[229:230], s[8:9], -v[231:232]
	v_add_f64 v[2:3], v[6:7], v[2:3]
	v_fma_f64 v[6:7], v[235:236], s[8:9], v[237:238]
	s_delay_alu instid0(VALU_DEP_4) | instskip(SKIP_1) | instid1(VALU_DEP_4)
	v_add_f64 v[0:1], v[8:9], v[0:1]
	v_fma_f64 v[8:9], v[241:242], s[2:3], -v[243:244]
	v_add_f64 v[2:3], v[10:11], v[2:3]
	v_fma_f64 v[10:11], v[245:246], s[2:3], v[247:248]
	s_delay_alu instid0(VALU_DEP_4) | instskip(NEXT) | instid1(VALU_DEP_3)
	v_add_f64 v[0:1], v[4:5], v[0:1]
	v_add_f64 v[2:3], v[6:7], v[2:3]
	s_delay_alu instid0(VALU_DEP_2)
	v_add_f64 v[132:133], v[8:9], v[0:1]
	scratch_load_b64 v[0:1], off, off offset:48 ; 8-byte Folded Reload
	v_add_f64 v[134:135], v[10:11], v[2:3]
	v_add_f64 v[2:3], v[130:131], v[66:67]
	s_waitcnt vmcnt(0)
	s_waitcnt_vscnt null, 0x0
	s_barrier
	buffer_gl0_inv
	v_add_f64 v[2:3], v[2:3], v[74:75]
	s_delay_alu instid0(VALU_DEP_1) | instskip(NEXT) | instid1(VALU_DEP_1)
	v_add_f64 v[2:3], v[2:3], v[76:77]
	v_add_f64 v[2:3], v[2:3], v[82:83]
	s_delay_alu instid0(VALU_DEP_1) | instskip(NEXT) | instid1(VALU_DEP_1)
	v_add_f64 v[2:3], v[2:3], v[86:87]
	;; [unrolled: 3-line block ×3, first 2 shown]
	v_add_f64 v[2:3], v[2:3], v[124:125]
	v_mad_u64_u32 v[124:125], null, 0xc0, v104, s[0:1]
	s_delay_alu instid0(VALU_DEP_2) | instskip(SKIP_1) | instid1(VALU_DEP_2)
	v_add_f64 v[2:3], v[2:3], v[68:69]
	v_add_f64 v[0:1], v[0:1], v[64:65]
	;; [unrolled: 1-line block ×3, first 2 shown]
	s_delay_alu instid0(VALU_DEP_2) | instskip(NEXT) | instid1(VALU_DEP_2)
	v_add_f64 v[0:1], v[0:1], v[72:73]
	v_add_f64 v[50:51], v[2:3], v[50:51]
	s_delay_alu instid0(VALU_DEP_2) | instskip(NEXT) | instid1(VALU_DEP_1)
	v_add_f64 v[0:1], v[0:1], v[78:79]
	v_add_f64 v[0:1], v[0:1], v[80:81]
	s_delay_alu instid0(VALU_DEP_1) | instskip(NEXT) | instid1(VALU_DEP_1)
	v_add_f64 v[0:1], v[0:1], v[84:85]
	v_add_f64 v[0:1], v[0:1], v[100:101]
	s_delay_alu instid0(VALU_DEP_1) | instskip(NEXT) | instid1(VALU_DEP_1)
	;; [unrolled: 3-line block ×3, first 2 shown]
	v_add_f64 v[0:1], v[0:1], v[70:71]
	v_add_f64 v[0:1], v[0:1], v[60:61]
	s_delay_alu instid0(VALU_DEP_1) | instskip(SKIP_1) | instid1(VALU_DEP_1)
	v_add_f64 v[48:49], v[0:1], v[48:49]
	v_and_b32_e32 v0, 0xffff, v107
	v_mul_u32_u24_e32 v0, 0x5b, v0
	s_delay_alu instid0(VALU_DEP_1) | instskip(NEXT) | instid1(VALU_DEP_1)
	v_add_nc_u32_e32 v0, v0, v186
	v_lshl_add_u32 v186, v0, 4, v105
	ds_store_b128 v186, v[191:194] offset:224
	ds_store_b128 v186, v[195:198] offset:336
	;; [unrolled: 1-line block ×12, first 2 shown]
	ds_store_b128 v186, v[48:51]
	s_waitcnt lgkmcnt(0)
	s_barrier
	buffer_gl0_inv
	s_clause 0x1
	global_load_b128 v[4:7], v[124:125], off offset:1344
	global_load_b128 v[8:11], v[124:125], off offset:1360
	scratch_store_b32 off, v104, off offset:48 ; 4-byte Folded Spill
	ds_load_b128 v[60:63], v255 offset:1456
	ds_load_b128 v[152:155], v255
	s_waitcnt vmcnt(1)
	scratch_store_b128 off, v[4:7], off offset:216 ; 16-byte Folded Spill
	s_clause 0x1
	global_load_b128 v[16:19], v[124:125], off offset:1520
	global_load_b128 v[12:15], v[124:125], off offset:1504
	s_waitcnt lgkmcnt(1)
	v_mul_f64 v[0:1], v[62:63], v[6:7]
	v_mul_f64 v[2:3], v[60:61], v[6:7]
	ds_load_b128 v[64:67], v255 offset:17472
	v_fma_f64 v[0:1], v[60:61], v[4:5], -v[0:1]
	v_fma_f64 v[2:3], v[62:63], v[4:5], v[2:3]
	s_waitcnt vmcnt(1) lgkmcnt(0)
	v_mul_f64 v[4:5], v[64:65], v[18:19]
	scratch_store_b128 off, v[16:19], off offset:348 ; 16-byte Folded Spill
	v_fma_f64 v[148:149], v[66:67], v[16:17], v[4:5]
	v_mul_f64 v[4:5], v[66:67], v[18:19]
	s_delay_alu instid0(VALU_DEP_2) | instskip(NEXT) | instid1(VALU_DEP_2)
	v_add_f64 v[44:45], v[2:3], v[148:149]
	v_fma_f64 v[150:151], v[64:65], v[16:17], -v[4:5]
	ds_load_b128 v[64:67], v255 offset:2912
	ds_load_b128 v[72:75], v255 offset:4368
	scratch_store_b128 off, v[8:11], off offset:248 ; 16-byte Folded Spill
	s_waitcnt lgkmcnt(1)
	v_mul_f64 v[4:5], v[66:67], v[10:11]
	v_add_f64 v[16:17], v[0:1], v[150:151]
	s_delay_alu instid0(VALU_DEP_2) | instskip(SKIP_1) | instid1(VALU_DEP_1)
	v_fma_f64 v[160:161], v[64:65], v[8:9], -v[4:5]
	v_mul_f64 v[4:5], v[64:65], v[10:11]
	v_fma_f64 v[162:163], v[66:67], v[8:9], v[4:5]
	ds_load_b128 v[64:67], v255 offset:16016
	ds_load_b128 v[128:131], v255 offset:14560
	s_waitcnt vmcnt(0)
	scratch_store_b128 off, v[12:15], off offset:284 ; 16-byte Folded Spill
	s_waitcnt lgkmcnt(1)
	v_mul_f64 v[4:5], v[66:67], v[14:15]
	s_delay_alu instid0(VALU_DEP_1) | instskip(SKIP_1) | instid1(VALU_DEP_2)
	v_fma_f64 v[156:157], v[64:65], v[12:13], -v[4:5]
	v_mul_f64 v[4:5], v[64:65], v[14:15]
	v_add_f64 v[213:214], v[160:161], v[156:157]
	s_delay_alu instid0(VALU_DEP_2)
	v_fma_f64 v[158:159], v[66:67], v[12:13], v[4:5]
	s_clause 0x1
	global_load_b128 v[10:13], v[124:125], off offset:1376
	global_load_b128 v[6:9], v[124:125], off offset:1392
	v_add_f64 v[237:238], v[160:161], -v[156:157]
	v_add_f64 v[219:220], v[162:163], -v[158:159]
	v_add_f64 v[227:228], v[162:163], v[158:159]
	s_delay_alu instid0(VALU_DEP_3) | instskip(SKIP_4) | instid1(VALU_DEP_3)
	v_mul_f64 v[243:244], v[237:238], s[22:23]
	v_mul_f64 v[180:181], v[237:238], s[36:37]
	;; [unrolled: 1-line block ×5, first 2 shown]
	v_fma_f64 v[42:43], v[227:228], s[16:17], v[40:41]
	v_fma_f64 v[40:41], v[227:228], s[16:17], -v[40:41]
	s_waitcnt vmcnt(1)
	v_mul_f64 v[4:5], v[72:73], v[12:13]
	scratch_store_b128 off, v[10:13], off offset:444 ; 16-byte Folded Spill
	v_fma_f64 v[164:165], v[74:75], v[10:11], v[4:5]
	v_mul_f64 v[4:5], v[74:75], v[12:13]
	s_delay_alu instid0(VALU_DEP_1)
	v_fma_f64 v[166:167], v[72:73], v[10:11], -v[4:5]
	ds_load_b128 v[64:67], v255 offset:5824
	ds_load_b128 v[72:75], v255 offset:7280
	s_waitcnt vmcnt(0)
	scratch_store_b128 off, v[6:9], off offset:316 ; 16-byte Folded Spill
	s_waitcnt lgkmcnt(1)
	v_mul_f64 v[4:5], v[66:67], v[8:9]
	s_delay_alu instid0(VALU_DEP_1) | instskip(SKIP_1) | instid1(VALU_DEP_1)
	v_fma_f64 v[168:169], v[64:65], v[6:7], -v[4:5]
	v_mul_f64 v[4:5], v[64:65], v[8:9]
	v_fma_f64 v[170:171], v[66:67], v[6:7], v[4:5]
	s_clause 0x1
	global_load_b128 v[10:13], v[124:125], off offset:1408
	global_load_b128 v[6:9], v[124:125], off offset:1424
	s_waitcnt vmcnt(1) lgkmcnt(0)
	v_mul_f64 v[4:5], v[74:75], v[12:13]
	scratch_store_b128 off, v[10:13], off offset:364 ; 16-byte Folded Spill
	v_fma_f64 v[172:173], v[72:73], v[10:11], -v[4:5]
	v_mul_f64 v[4:5], v[72:73], v[12:13]
	s_delay_alu instid0(VALU_DEP_1)
	v_fma_f64 v[174:175], v[74:75], v[10:11], v[4:5]
	ds_load_b128 v[72:75], v255 offset:8736
	ds_load_b128 v[120:123], v255 offset:10192
	s_waitcnt vmcnt(0)
	scratch_store_b128 off, v[6:9], off offset:300 ; 16-byte Folded Spill
	s_waitcnt lgkmcnt(1)
	v_mul_f64 v[4:5], v[74:75], v[8:9]
	s_delay_alu instid0(VALU_DEP_1) | instskip(SKIP_2) | instid1(VALU_DEP_2)
	v_fma_f64 v[176:177], v[72:73], v[6:7], -v[4:5]
	v_mul_f64 v[4:5], v[72:73], v[8:9]
	v_mul_f64 v[72:73], v[237:238], s[34:35]
	v_fma_f64 v[178:179], v[74:75], v[6:7], v[4:5]
	s_clause 0x1
	global_load_b128 v[10:13], v[124:125], off offset:1440
	global_load_b128 v[6:9], v[124:125], off offset:1456
	v_fma_f64 v[74:75], v[227:228], s[28:29], v[72:73]
	v_fma_f64 v[72:73], v[227:228], s[28:29], -v[72:73]
	s_waitcnt vmcnt(1) lgkmcnt(0)
	v_mul_f64 v[4:5], v[122:123], v[12:13]
	scratch_store_b128 off, v[10:13], off offset:380 ; 16-byte Folded Spill
	v_fma_f64 v[189:190], v[120:121], v[10:11], -v[4:5]
	v_mul_f64 v[4:5], v[120:121], v[12:13]
	s_delay_alu instid0(VALU_DEP_1)
	v_fma_f64 v[191:192], v[122:123], v[10:11], v[4:5]
	ds_load_b128 v[120:123], v255 offset:11648
	ds_load_b128 v[132:135], v255 offset:13104
	s_waitcnt vmcnt(0)
	scratch_store_b128 off, v[6:9], off offset:332 ; 16-byte Folded Spill
	s_waitcnt lgkmcnt(1)
	v_mul_f64 v[4:5], v[122:123], v[8:9]
	s_delay_alu instid0(VALU_DEP_1) | instskip(SKIP_1) | instid1(VALU_DEP_1)
	v_fma_f64 v[193:194], v[120:121], v[6:7], -v[4:5]
	v_mul_f64 v[4:5], v[120:121], v[8:9]
	v_fma_f64 v[195:196], v[122:123], v[6:7], v[4:5]
	s_clause 0x1
	global_load_b128 v[120:123], v[124:125], off offset:1472
	global_load_b128 v[124:127], v[124:125], off offset:1488
	s_waitcnt vmcnt(1) lgkmcnt(0)
	v_mul_f64 v[4:5], v[134:135], v[122:123]
	s_delay_alu instid0(VALU_DEP_1) | instskip(SKIP_1) | instid1(VALU_DEP_2)
	v_fma_f64 v[197:198], v[132:133], v[120:121], -v[4:5]
	v_mul_f64 v[4:5], v[132:133], v[122:123]
	v_add_f64 v[253:254], v[168:169], v[197:198]
	s_delay_alu instid0(VALU_DEP_2) | instskip(SKIP_2) | instid1(VALU_DEP_1)
	v_fma_f64 v[199:200], v[134:135], v[120:121], v[4:5]
	s_waitcnt vmcnt(0)
	v_mul_f64 v[4:5], v[128:129], v[126:127]
	v_fma_f64 v[201:202], v[130:131], v[124:125], v[4:5]
	v_mul_f64 v[4:5], v[130:131], v[126:127]
	s_delay_alu instid0(VALU_DEP_2) | instskip(NEXT) | instid1(VALU_DEP_2)
	v_add_f64 v[241:242], v[164:165], -v[201:202]
	v_fma_f64 v[203:204], v[128:129], v[124:125], -v[4:5]
	v_add_f64 v[4:5], v[2:3], -v[148:149]
	v_add_f64 v[251:252], v[164:165], v[201:202]
	s_delay_alu instid0(VALU_DEP_4) | instskip(NEXT) | instid1(VALU_DEP_4)
	v_mul_f64 v[245:246], v[241:242], s[18:19]
	v_add_f64 v[229:230], v[166:167], v[203:204]
	s_delay_alu instid0(VALU_DEP_4)
	v_mul_f64 v[6:7], v[4:5], s[44:45]
	v_mul_f64 v[8:9], v[4:5], s[26:27]
	;; [unrolled: 1-line block ×9, first 2 shown]
	v_fma_f64 v[18:19], v[16:17], s[28:29], -v[6:7]
	v_fma_f64 v[6:7], v[16:17], s[28:29], v[6:7]
	v_fma_f64 v[20:21], v[16:17], s[14:15], -v[8:9]
	v_fma_f64 v[8:9], v[16:17], s[14:15], v[8:9]
	;; [unrolled: 2-line block ×6, first 2 shown]
	v_add_f64 v[16:17], v[0:1], -v[150:151]
	v_add_f64 v[0:1], v[152:153], v[0:1]
	v_fma_f64 v[187:188], v[229:230], s[28:29], -v[184:185]
	v_fma_f64 v[50:51], v[229:230], s[14:15], -v[48:49]
	;; [unrolled: 1-line block ×3, first 2 shown]
	v_fma_f64 v[48:49], v[229:230], s[14:15], v[48:49]
	v_add_f64 v[146:147], v[152:153], v[8:9]
	v_add_f64 v[249:250], v[152:153], v[22:23]
	;; [unrolled: 1-line block ×9, first 2 shown]
	v_mul_f64 v[30:31], v[16:17], s[44:45]
	scratch_store_b64 off, v[0:1], off offset:492 ; 8-byte Folded Spill
	v_add_f64 v[0:1], v[154:155], v[2:3]
	v_mul_f64 v[32:33], v[16:17], s[26:27]
	v_fma_f64 v[4:5], v[213:214], s[12:13], -v[221:222]
	v_mul_f64 v[34:35], v[16:17], s[24:25]
	v_mul_f64 v[36:37], v[16:17], s[22:23]
	;; [unrolled: 1-line block ×4, first 2 shown]
	v_add_f64 v[225:226], v[152:153], v[28:29]
	v_add_f64 v[26:27], v[174:175], v[195:196]
	v_fma_f64 v[46:47], v[44:45], s[28:29], v[30:31]
	v_fma_f64 v[30:31], v[44:45], s[28:29], -v[30:31]
	scratch_store_b64 off, v[0:1], off offset:500 ; 8-byte Folded Spill
	v_add_f64 v[0:1], v[152:153], v[18:19]
	v_fma_f64 v[52:53], v[44:45], s[14:15], v[32:33]
	v_fma_f64 v[32:33], v[44:45], s[14:15], -v[32:33]
	v_fma_f64 v[54:55], v[44:45], s[16:17], v[34:35]
	v_fma_f64 v[34:35], v[44:45], s[16:17], -v[34:35]
	;; [unrolled: 2-line block ×5, first 2 shown]
	scratch_store_b64 off, v[0:1], off offset:516 ; 8-byte Folded Spill
	v_add_f64 v[0:1], v[154:155], v[46:47]
	v_add_f64 v[2:3], v[154:155], v[52:53]
	;; [unrolled: 1-line block ×6, first 2 shown]
	v_mul_f64 v[46:47], v[219:220], s[18:19]
	v_add_f64 v[136:137], v[154:155], v[36:37]
	v_add_f64 v[247:248], v[154:155], v[54:55]
	;; [unrolled: 1-line block ×7, first 2 shown]
	v_mul_f64 v[54:55], v[241:242], s[42:43]
	v_mul_f64 v[52:53], v[237:238], s[18:19]
	scratch_store_b64 off, v[0:1], off offset:508 ; 8-byte Folded Spill
	v_add_f64 v[0:1], v[152:153], v[6:7]
	v_add_f64 v[72:73], v[72:73], v[128:129]
	v_add_f64 v[40:41], v[40:41], v[132:133]
	v_add_f64 v[42:43], v[42:43], v[231:232]
	v_add_f64 v[74:75], v[74:75], v[223:224]
	v_fma_f64 v[56:57], v[229:230], s[12:13], -v[54:55]
	scratch_store_b64 off, v[0:1], off offset:476 ; 8-byte Folded Spill
	v_add_f64 v[0:1], v[154:155], v[30:31]
	scratch_store_b64 off, v[0:1], off offset:484 ; 8-byte Folded Spill
	v_add_f64 v[0:1], v[152:153], v[20:21]
	v_add_f64 v[20:21], v[172:173], v[193:194]
	s_delay_alu instid0(VALU_DEP_2) | instskip(SKIP_1) | instid1(VALU_DEP_1)
	v_add_f64 v[0:1], v[4:5], v[0:1]
	v_fma_f64 v[4:5], v[227:228], s[12:13], v[243:244]
	v_add_f64 v[2:3], v[4:5], v[2:3]
	v_fma_f64 v[4:5], v[229:230], s[2:3], -v[245:246]
	s_delay_alu instid0(VALU_DEP_1) | instskip(SKIP_1) | instid1(VALU_DEP_1)
	v_add_f64 v[0:1], v[4:5], v[0:1]
	v_add_f64 v[4:5], v[166:167], -v[203:204]
	v_mul_f64 v[6:7], v[4:5], s[18:19]
	s_delay_alu instid0(VALU_DEP_1) | instskip(SKIP_1) | instid1(VALU_DEP_2)
	v_fma_f64 v[8:9], v[251:252], s[2:3], v[6:7]
	v_fma_f64 v[6:7], v[251:252], s[2:3], -v[6:7]
	v_add_f64 v[2:3], v[8:9], v[2:3]
	v_add_f64 v[8:9], v[170:171], -v[199:200]
	s_delay_alu instid0(VALU_DEP_1) | instskip(SKIP_2) | instid1(VALU_DEP_3)
	v_mul_f64 v[10:11], v[8:9], s[36:37]
	v_mul_f64 v[60:61], v[8:9], s[40:41]
	;; [unrolled: 1-line block ×3, first 2 shown]
	v_fma_f64 v[12:13], v[253:254], s[8:9], -v[10:11]
	s_delay_alu instid0(VALU_DEP_3) | instskip(NEXT) | instid1(VALU_DEP_3)
	v_fma_f64 v[62:63], v[253:254], s[2:3], -v[60:61]
	v_fma_f64 v[82:83], v[253:254], s[14:15], -v[80:81]
	v_fma_f64 v[10:11], v[253:254], s[8:9], v[10:11]
	s_delay_alu instid0(VALU_DEP_4) | instskip(SKIP_1) | instid1(VALU_DEP_1)
	v_add_f64 v[0:1], v[12:13], v[0:1]
	v_add_f64 v[12:13], v[168:169], -v[197:198]
	v_mul_f64 v[16:17], v[12:13], s[36:37]
	s_delay_alu instid0(VALU_DEP_1) | instskip(SKIP_1) | instid1(VALU_DEP_2)
	v_fma_f64 v[18:19], v[14:15], s[8:9], v[16:17]
	v_fma_f64 v[16:17], v[14:15], s[8:9], -v[16:17]
	v_add_f64 v[2:3], v[18:19], v[2:3]
	v_add_f64 v[18:19], v[174:175], -v[195:196]
	s_delay_alu instid0(VALU_DEP_1) | instskip(SKIP_2) | instid1(VALU_DEP_3)
	v_mul_f64 v[22:23], v[18:19], s[30:31]
	v_mul_f64 v[64:65], v[18:19], s[34:35]
	;; [unrolled: 1-line block ×3, first 2 shown]
	v_fma_f64 v[24:25], v[20:21], s[16:17], -v[22:23]
	s_delay_alu instid0(VALU_DEP_3) | instskip(NEXT) | instid1(VALU_DEP_3)
	v_fma_f64 v[66:67], v[20:21], s[28:29], -v[64:65]
	v_fma_f64 v[86:87], v[20:21], s[12:13], -v[84:85]
	s_delay_alu instid0(VALU_DEP_3) | instskip(SKIP_1) | instid1(VALU_DEP_1)
	v_add_f64 v[0:1], v[24:25], v[0:1]
	v_add_f64 v[24:25], v[172:173], -v[193:194]
	v_mul_f64 v[28:29], v[24:25], s[30:31]
	s_delay_alu instid0(VALU_DEP_1) | instskip(NEXT) | instid1(VALU_DEP_1)
	v_fma_f64 v[30:31], v[26:27], s[16:17], v[28:29]
	v_add_f64 v[2:3], v[30:31], v[2:3]
	v_add_f64 v[30:31], v[178:179], -v[191:192]
	s_delay_alu instid0(VALU_DEP_1) | instskip(SKIP_2) | instid1(VALU_DEP_3)
	v_mul_f64 v[34:35], v[30:31], s[34:35]
	v_mul_f64 v[68:69], v[30:31], s[22:23]
	v_mul_f64 v[100:101], v[30:31], s[30:31]
	v_fma_f64 v[36:37], v[32:33], s[28:29], -v[34:35]
	s_delay_alu instid0(VALU_DEP_3) | instskip(NEXT) | instid1(VALU_DEP_3)
	v_fma_f64 v[70:71], v[32:33], s[12:13], -v[68:69]
	v_fma_f64 v[102:103], v[32:33], s[16:17], -v[100:101]
	s_delay_alu instid0(VALU_DEP_3) | instskip(SKIP_1) | instid1(VALU_DEP_1)
	v_add_f64 v[152:153], v[36:37], v[0:1]
	v_add_f64 v[36:37], v[176:177], -v[189:190]
	v_mul_f64 v[44:45], v[36:37], s[34:35]
	s_delay_alu instid0(VALU_DEP_1) | instskip(NEXT) | instid1(VALU_DEP_1)
	v_fma_f64 v[0:1], v[38:39], s[28:29], v[44:45]
	v_add_f64 v[154:155], v[0:1], v[2:3]
	v_fma_f64 v[0:1], v[213:214], s[2:3], -v[46:47]
	v_fma_f64 v[2:3], v[227:228], s[2:3], v[52:53]
	s_delay_alu instid0(VALU_DEP_2) | instskip(NEXT) | instid1(VALU_DEP_2)
	v_add_f64 v[0:1], v[0:1], v[249:250]
	v_add_f64 v[2:3], v[2:3], v[247:248]
	s_delay_alu instid0(VALU_DEP_2) | instskip(SKIP_1) | instid1(VALU_DEP_1)
	v_add_f64 v[0:1], v[56:57], v[0:1]
	v_mul_f64 v[56:57], v[4:5], s[42:43]
	v_fma_f64 v[58:59], v[251:252], s[12:13], v[56:57]
	s_delay_alu instid0(VALU_DEP_1) | instskip(SKIP_1) | instid1(VALU_DEP_1)
	v_add_f64 v[2:3], v[58:59], v[2:3]
	v_mul_f64 v[58:59], v[8:9], s[34:35]
	v_fma_f64 v[88:89], v[253:254], s[28:29], -v[58:59]
	s_delay_alu instid0(VALU_DEP_1) | instskip(SKIP_1) | instid1(VALU_DEP_1)
	v_add_f64 v[0:1], v[88:89], v[0:1]
	v_mul_f64 v[88:89], v[12:13], s[34:35]
	v_fma_f64 v[90:91], v[14:15], s[28:29], v[88:89]
	s_delay_alu instid0(VALU_DEP_1) | instskip(SKIP_1) | instid1(VALU_DEP_1)
	v_add_f64 v[2:3], v[90:91], v[2:3]
	v_mul_f64 v[90:91], v[18:19], s[26:27]
	v_fma_f64 v[92:93], v[20:21], s[14:15], -v[90:91]
	s_delay_alu instid0(VALU_DEP_1) | instskip(SKIP_1) | instid1(VALU_DEP_1)
	;; [unrolled: 8-line block ×3, first 2 shown]
	v_add_f64 v[247:248], v[96:97], v[0:1]
	v_mul_f64 v[96:97], v[36:37], s[20:21]
	v_fma_f64 v[0:1], v[38:39], s[8:9], v[96:97]
	s_delay_alu instid0(VALU_DEP_1) | instskip(SKIP_2) | instid1(VALU_DEP_2)
	v_add_f64 v[249:250], v[0:1], v[2:3]
	v_fma_f64 v[0:1], v[213:214], s[8:9], -v[98:99]
	v_fma_f64 v[2:3], v[227:228], s[8:9], v[180:181]
	v_add_f64 v[0:1], v[0:1], v[239:240]
	s_delay_alu instid0(VALU_DEP_2) | instskip(NEXT) | instid1(VALU_DEP_2)
	v_add_f64 v[2:3], v[2:3], v[235:236]
	v_add_f64 v[0:1], v[187:188], v[0:1]
	v_mul_f64 v[187:188], v[4:5], s[34:35]
	s_delay_alu instid0(VALU_DEP_1) | instskip(NEXT) | instid1(VALU_DEP_1)
	v_fma_f64 v[235:236], v[251:252], s[28:29], v[187:188]
	v_add_f64 v[2:3], v[235:236], v[2:3]
	v_mul_f64 v[235:236], v[8:9], s[24:25]
	v_mul_f64 v[8:9], v[8:9], s[22:23]
	s_delay_alu instid0(VALU_DEP_2) | instskip(NEXT) | instid1(VALU_DEP_1)
	v_fma_f64 v[239:240], v[253:254], s[16:17], -v[235:236]
	v_add_f64 v[0:1], v[239:240], v[0:1]
	v_mul_f64 v[239:240], v[12:13], s[24:25]
	s_delay_alu instid0(VALU_DEP_1) | instskip(NEXT) | instid1(VALU_DEP_1)
	v_fma_f64 v[205:206], v[14:15], s[16:17], v[239:240]
	v_add_f64 v[2:3], v[205:206], v[2:3]
	v_mul_f64 v[205:206], v[18:19], s[40:41]
	v_mul_f64 v[18:19], v[18:19], s[20:21]
	s_delay_alu instid0(VALU_DEP_2) | instskip(NEXT) | instid1(VALU_DEP_1)
	v_fma_f64 v[207:208], v[20:21], s[2:3], -v[205:206]
	;; [unrolled: 9-line block ×3, first 2 shown]
	v_add_f64 v[0:1], v[211:212], v[0:1]
	v_mul_f64 v[211:212], v[36:37], s[38:39]
	s_delay_alu instid0(VALU_DEP_1) | instskip(NEXT) | instid1(VALU_DEP_1)
	v_fma_f64 v[215:216], v[38:39], s[14:15], v[211:212]
	v_add_f64 v[2:3], v[215:216], v[2:3]
	v_mul_f64 v[215:216], v[219:220], s[30:31]
	s_delay_alu instid0(VALU_DEP_1) | instskip(NEXT) | instid1(VALU_DEP_1)
	v_fma_f64 v[217:218], v[213:214], s[16:17], -v[215:216]
	v_add_f64 v[217:218], v[217:218], v[233:234]
	s_delay_alu instid0(VALU_DEP_1) | instskip(SKIP_1) | instid1(VALU_DEP_2)
	v_add_f64 v[50:51], v[50:51], v[217:218]
	v_mul_f64 v[217:218], v[4:5], s[26:27]
	v_add_f64 v[50:51], v[62:63], v[50:51]
	s_delay_alu instid0(VALU_DEP_2) | instskip(SKIP_1) | instid1(VALU_DEP_3)
	v_fma_f64 v[231:232], v[251:252], s[14:15], v[217:218]
	v_mul_f64 v[62:63], v[12:13], s[40:41]
	v_add_f64 v[50:51], v[66:67], v[50:51]
	s_delay_alu instid0(VALU_DEP_3) | instskip(NEXT) | instid1(VALU_DEP_3)
	v_add_f64 v[42:43], v[231:232], v[42:43]
	v_fma_f64 v[231:232], v[14:15], s[2:3], v[62:63]
	v_mul_f64 v[66:67], v[24:25], s[34:35]
	s_delay_alu instid0(VALU_DEP_2) | instskip(NEXT) | instid1(VALU_DEP_2)
	v_add_f64 v[42:43], v[231:232], v[42:43]
	v_fma_f64 v[231:232], v[26:27], s[28:29], v[66:67]
	s_delay_alu instid0(VALU_DEP_1) | instskip(SKIP_2) | instid1(VALU_DEP_1)
	v_add_f64 v[42:43], v[231:232], v[42:43]
	v_add_f64 v[231:232], v[70:71], v[50:51]
	v_mul_f64 v[50:51], v[36:37], s[22:23]
	v_fma_f64 v[70:71], v[38:39], s[12:13], v[50:51]
	v_fma_f64 v[50:51], v[38:39], s[12:13], -v[50:51]
	s_delay_alu instid0(VALU_DEP_2) | instskip(SKIP_1) | instid1(VALU_DEP_1)
	v_add_f64 v[233:234], v[70:71], v[42:43]
	v_mul_f64 v[42:43], v[219:220], s[34:35]
	v_fma_f64 v[70:71], v[213:214], s[28:29], -v[42:43]
	v_fma_f64 v[42:43], v[213:214], s[28:29], v[42:43]
	s_delay_alu instid0(VALU_DEP_2) | instskip(NEXT) | instid1(VALU_DEP_2)
	v_add_f64 v[70:71], v[70:71], v[225:226]
	v_add_f64 v[42:43], v[42:43], v[130:131]
	s_delay_alu instid0(VALU_DEP_2) | instskip(SKIP_2) | instid1(VALU_DEP_3)
	v_add_f64 v[70:71], v[78:79], v[70:71]
	v_mul_f64 v[78:79], v[4:5], s[20:21]
	v_mul_f64 v[4:5], v[4:5], s[24:25]
	v_add_f64 v[70:71], v[82:83], v[70:71]
	s_delay_alu instid0(VALU_DEP_3) | instskip(SKIP_2) | instid1(VALU_DEP_4)
	v_fma_f64 v[223:224], v[251:252], s[8:9], v[78:79]
	v_mul_f64 v[82:83], v[12:13], s[38:39]
	v_mul_f64 v[12:13], v[12:13], s[22:23]
	v_add_f64 v[70:71], v[86:87], v[70:71]
	s_delay_alu instid0(VALU_DEP_4) | instskip(NEXT) | instid1(VALU_DEP_4)
	v_add_f64 v[74:75], v[223:224], v[74:75]
	v_fma_f64 v[223:224], v[14:15], s[14:15], v[82:83]
	v_mul_f64 v[86:87], v[24:25], s[22:23]
	v_mul_f64 v[24:25], v[24:25], s[20:21]
	s_delay_alu instid0(VALU_DEP_3) | instskip(NEXT) | instid1(VALU_DEP_3)
	v_add_f64 v[74:75], v[223:224], v[74:75]
	v_fma_f64 v[223:224], v[26:27], s[12:13], v[86:87]
	s_delay_alu instid0(VALU_DEP_1) | instskip(SKIP_2) | instid1(VALU_DEP_1)
	v_add_f64 v[74:75], v[223:224], v[74:75]
	v_add_f64 v[223:224], v[102:103], v[70:71]
	v_mul_f64 v[70:71], v[36:37], s[30:31]
	v_fma_f64 v[102:103], v[38:39], s[16:17], v[70:71]
	v_fma_f64 v[70:71], v[38:39], s[16:17], -v[70:71]
	s_delay_alu instid0(VALU_DEP_2) | instskip(SKIP_1) | instid1(VALU_DEP_1)
	v_add_f64 v[225:226], v[102:103], v[74:75]
	v_fma_f64 v[74:75], v[229:230], s[8:9], v[76:77]
	v_add_f64 v[42:43], v[74:75], v[42:43]
	v_fma_f64 v[74:75], v[251:252], s[8:9], -v[78:79]
	s_delay_alu instid0(VALU_DEP_1) | instskip(SKIP_1) | instid1(VALU_DEP_1)
	v_add_f64 v[72:73], v[74:75], v[72:73]
	v_fma_f64 v[74:75], v[253:254], s[14:15], v[80:81]
	v_add_f64 v[42:43], v[74:75], v[42:43]
	v_fma_f64 v[74:75], v[14:15], s[14:15], -v[82:83]
	s_delay_alu instid0(VALU_DEP_1) | instskip(SKIP_1) | instid1(VALU_DEP_1)
	v_add_f64 v[72:73], v[74:75], v[72:73]
	v_fma_f64 v[74:75], v[20:21], s[12:13], v[84:85]
	v_add_f64 v[42:43], v[74:75], v[42:43]
	v_fma_f64 v[74:75], v[26:27], s[12:13], -v[86:87]
	s_delay_alu instid0(VALU_DEP_1) | instskip(SKIP_1) | instid1(VALU_DEP_2)
	v_add_f64 v[72:73], v[74:75], v[72:73]
	v_fma_f64 v[74:75], v[32:33], s[16:17], v[100:101]
	v_add_f64 v[130:131], v[70:71], v[72:73]
	s_delay_alu instid0(VALU_DEP_2) | instskip(SKIP_1) | instid1(VALU_DEP_1)
	v_add_f64 v[128:129], v[74:75], v[42:43]
	v_fma_f64 v[42:43], v[213:214], s[16:17], v[215:216]
	v_add_f64 v[42:43], v[42:43], v[134:135]
	s_delay_alu instid0(VALU_DEP_1) | instskip(SKIP_1) | instid1(VALU_DEP_1)
	v_add_f64 v[42:43], v[48:49], v[42:43]
	v_fma_f64 v[48:49], v[251:252], s[14:15], -v[217:218]
	v_add_f64 v[40:41], v[48:49], v[40:41]
	v_fma_f64 v[48:49], v[253:254], s[2:3], v[60:61]
	s_delay_alu instid0(VALU_DEP_1) | instskip(SKIP_1) | instid1(VALU_DEP_1)
	v_add_f64 v[42:43], v[48:49], v[42:43]
	v_fma_f64 v[48:49], v[14:15], s[2:3], -v[62:63]
	v_add_f64 v[40:41], v[48:49], v[40:41]
	v_fma_f64 v[48:49], v[20:21], s[28:29], v[64:65]
	;; [unrolled: 5-line block ×3, first 2 shown]
	s_delay_alu instid0(VALU_DEP_2) | instskip(SKIP_1) | instid1(VALU_DEP_3)
	v_add_f64 v[134:135], v[50:51], v[40:41]
	v_fma_f64 v[40:41], v[213:214], s[8:9], v[98:99]
	v_add_f64 v[132:133], v[48:49], v[42:43]
	v_fma_f64 v[42:43], v[227:228], s[8:9], -v[180:181]
	v_fma_f64 v[48:49], v[229:230], s[28:29], v[184:185]
	v_fma_f64 v[50:51], v[38:39], s[14:15], -v[211:212]
	v_add_f64 v[40:41], v[40:41], v[138:139]
	s_delay_alu instid0(VALU_DEP_4) | instskip(NEXT) | instid1(VALU_DEP_2)
	v_add_f64 v[42:43], v[42:43], v[136:137]
	v_add_f64 v[40:41], v[48:49], v[40:41]
	v_fma_f64 v[48:49], v[251:252], s[28:29], -v[187:188]
	s_delay_alu instid0(VALU_DEP_1) | instskip(SKIP_1) | instid1(VALU_DEP_1)
	v_add_f64 v[42:43], v[48:49], v[42:43]
	v_fma_f64 v[48:49], v[253:254], s[16:17], v[235:236]
	v_add_f64 v[40:41], v[48:49], v[40:41]
	v_fma_f64 v[48:49], v[14:15], s[16:17], -v[239:240]
	s_delay_alu instid0(VALU_DEP_1) | instskip(SKIP_1) | instid1(VALU_DEP_1)
	v_add_f64 v[42:43], v[48:49], v[42:43]
	v_fma_f64 v[48:49], v[20:21], s[2:3], v[205:206]
	v_add_f64 v[40:41], v[48:49], v[40:41]
	v_fma_f64 v[48:49], v[26:27], s[2:3], -v[207:208]
	s_delay_alu instid0(VALU_DEP_1) | instskip(SKIP_1) | instid1(VALU_DEP_2)
	v_add_f64 v[42:43], v[48:49], v[42:43]
	v_fma_f64 v[48:49], v[32:33], s[14:15], v[209:210]
	v_add_f64 v[138:139], v[50:51], v[42:43]
	s_delay_alu instid0(VALU_DEP_2) | instskip(SKIP_4) | instid1(VALU_DEP_4)
	v_add_f64 v[136:137], v[48:49], v[40:41]
	v_fma_f64 v[40:41], v[213:214], s[2:3], v[46:47]
	v_fma_f64 v[42:43], v[227:228], s[2:3], -v[52:53]
	v_fma_f64 v[46:47], v[229:230], s[12:13], v[54:55]
	v_fma_f64 v[48:49], v[38:39], s[8:9], -v[96:97]
	v_add_f64 v[40:41], v[40:41], v[142:143]
	s_delay_alu instid0(VALU_DEP_4) | instskip(NEXT) | instid1(VALU_DEP_2)
	v_add_f64 v[42:43], v[42:43], v[140:141]
	v_add_f64 v[40:41], v[46:47], v[40:41]
	v_fma_f64 v[46:47], v[251:252], s[12:13], -v[56:57]
	s_delay_alu instid0(VALU_DEP_1) | instskip(SKIP_1) | instid1(VALU_DEP_1)
	v_add_f64 v[42:43], v[46:47], v[42:43]
	v_fma_f64 v[46:47], v[253:254], s[28:29], v[58:59]
	v_add_f64 v[40:41], v[46:47], v[40:41]
	v_fma_f64 v[46:47], v[14:15], s[28:29], -v[88:89]
	s_delay_alu instid0(VALU_DEP_1) | instskip(SKIP_1) | instid1(VALU_DEP_1)
	v_add_f64 v[42:43], v[46:47], v[42:43]
	v_fma_f64 v[46:47], v[20:21], s[14:15], v[90:91]
	v_add_f64 v[40:41], v[46:47], v[40:41]
	v_fma_f64 v[46:47], v[26:27], s[14:15], -v[92:93]
	s_delay_alu instid0(VALU_DEP_1) | instskip(SKIP_1) | instid1(VALU_DEP_2)
	v_add_f64 v[42:43], v[46:47], v[42:43]
	v_fma_f64 v[46:47], v[32:33], s[8:9], v[94:95]
	v_add_f64 v[142:143], v[48:49], v[42:43]
	s_delay_alu instid0(VALU_DEP_2) | instskip(SKIP_3) | instid1(VALU_DEP_3)
	v_add_f64 v[140:141], v[46:47], v[40:41]
	v_fma_f64 v[40:41], v[213:214], s[12:13], v[221:222]
	v_fma_f64 v[42:43], v[227:228], s[12:13], -v[243:244]
	v_fma_f64 v[46:47], v[229:230], s[2:3], v[245:246]
	v_add_f64 v[40:41], v[40:41], v[146:147]
	s_delay_alu instid0(VALU_DEP_3) | instskip(NEXT) | instid1(VALU_DEP_2)
	v_add_f64 v[42:43], v[42:43], v[144:145]
	v_add_f64 v[40:41], v[46:47], v[40:41]
	s_delay_alu instid0(VALU_DEP_2) | instskip(NEXT) | instid1(VALU_DEP_2)
	v_add_f64 v[6:7], v[6:7], v[42:43]
	v_add_f64 v[10:11], v[10:11], v[40:41]
	s_delay_alu instid0(VALU_DEP_2) | instskip(SKIP_2) | instid1(VALU_DEP_2)
	v_add_f64 v[6:7], v[16:17], v[6:7]
	v_fma_f64 v[16:17], v[20:21], s[16:17], v[22:23]
	v_fma_f64 v[22:23], v[38:39], s[28:29], -v[44:45]
	v_add_f64 v[10:11], v[16:17], v[10:11]
	v_fma_f64 v[16:17], v[26:27], s[16:17], -v[28:29]
	scratch_load_b64 v[28:29], off, off offset:508 ; 8-byte Folded Reload
	v_add_f64 v[6:7], v[16:17], v[6:7]
	v_fma_f64 v[16:17], v[32:33], s[28:29], v[34:35]
	s_delay_alu instid0(VALU_DEP_2) | instskip(NEXT) | instid1(VALU_DEP_2)
	v_add_f64 v[146:147], v[22:23], v[6:7]
	v_add_f64 v[144:145], v[16:17], v[10:11]
	scratch_load_b64 v[16:17], off, off offset:516 ; 8-byte Folded Reload
	v_mul_f64 v[6:7], v[219:220], s[26:27]
	s_delay_alu instid0(VALU_DEP_1) | instskip(SKIP_2) | instid1(VALU_DEP_2)
	v_fma_f64 v[10:11], v[213:214], s[14:15], -v[6:7]
	v_fma_f64 v[6:7], v[213:214], s[14:15], v[6:7]
	s_waitcnt vmcnt(0)
	v_add_f64 v[10:11], v[10:11], v[16:17]
	v_mul_f64 v[16:17], v[237:238], s[26:27]
	s_delay_alu instid0(VALU_DEP_1) | instskip(NEXT) | instid1(VALU_DEP_1)
	v_fma_f64 v[22:23], v[227:228], s[14:15], v[16:17]
	v_add_f64 v[22:23], v[22:23], v[28:29]
	v_mul_f64 v[28:29], v[241:242], s[24:25]
	s_delay_alu instid0(VALU_DEP_1) | instskip(NEXT) | instid1(VALU_DEP_1)
	v_fma_f64 v[34:35], v[229:230], s[16:17], -v[28:29]
	v_add_f64 v[10:11], v[34:35], v[10:11]
	v_fma_f64 v[34:35], v[251:252], s[16:17], v[4:5]
	v_fma_f64 v[4:5], v[251:252], s[16:17], -v[4:5]
	s_delay_alu instid0(VALU_DEP_2) | instskip(SKIP_2) | instid1(VALU_DEP_2)
	v_add_f64 v[22:23], v[34:35], v[22:23]
	v_fma_f64 v[34:35], v[253:254], s[12:13], -v[8:9]
	v_fma_f64 v[8:9], v[253:254], s[12:13], v[8:9]
	v_add_f64 v[10:11], v[34:35], v[10:11]
	v_fma_f64 v[34:35], v[14:15], s[12:13], v[12:13]
	v_fma_f64 v[12:13], v[14:15], s[12:13], -v[12:13]
	v_fma_f64 v[14:15], v[26:27], s[8:9], -v[24:25]
	s_delay_alu instid0(VALU_DEP_3) | instskip(SKIP_1) | instid1(VALU_DEP_1)
	v_add_f64 v[22:23], v[34:35], v[22:23]
	v_fma_f64 v[34:35], v[20:21], s[8:9], -v[18:19]
	v_add_f64 v[10:11], v[34:35], v[10:11]
	v_fma_f64 v[34:35], v[26:27], s[8:9], v[24:25]
	s_delay_alu instid0(VALU_DEP_1) | instskip(SKIP_2) | instid1(VALU_DEP_1)
	v_add_f64 v[22:23], v[34:35], v[22:23]
	v_mul_f64 v[34:35], v[36:37], s[18:19]
	v_fma_f64 v[36:37], v[32:33], s[2:3], -v[30:31]
	v_add_f64 v[215:216], v[36:37], v[10:11]
	s_delay_alu instid0(VALU_DEP_3) | instskip(NEXT) | instid1(VALU_DEP_1)
	v_fma_f64 v[10:11], v[38:39], s[2:3], v[34:35]
	v_add_f64 v[217:218], v[10:11], v[22:23]
	s_clause 0x1
	scratch_load_b64 v[10:11], off, off offset:492
	scratch_load_b64 v[22:23], off, off offset:500
	s_waitcnt vmcnt(0)
	v_add_f64 v[22:23], v[22:23], v[162:163]
	s_delay_alu instid0(VALU_DEP_1) | instskip(NEXT) | instid1(VALU_DEP_1)
	v_add_f64 v[22:23], v[22:23], v[164:165]
	v_add_f64 v[22:23], v[22:23], v[170:171]
	s_delay_alu instid0(VALU_DEP_1) | instskip(NEXT) | instid1(VALU_DEP_1)
	v_add_f64 v[22:23], v[22:23], v[174:175]
	;; [unrolled: 3-line block ×5, first 2 shown]
	v_add_f64 v[158:159], v[22:23], v[148:149]
	scratch_load_b64 v[22:23], off, off offset:476 ; 8-byte Folded Reload
	v_add_f64 v[10:11], v[10:11], v[160:161]
	s_delay_alu instid0(VALU_DEP_1) | instskip(NEXT) | instid1(VALU_DEP_1)
	v_add_f64 v[10:11], v[10:11], v[166:167]
	v_add_f64 v[10:11], v[10:11], v[168:169]
	s_delay_alu instid0(VALU_DEP_1) | instskip(NEXT) | instid1(VALU_DEP_1)
	v_add_f64 v[10:11], v[10:11], v[172:173]
	v_add_f64 v[10:11], v[10:11], v[176:177]
	s_delay_alu instid0(VALU_DEP_1) | instskip(SKIP_1) | instid1(VALU_DEP_1)
	v_add_f64 v[10:11], v[10:11], v[189:190]
	v_add_co_u32 v189, s0, 0x4000, v182
	v_add_co_ci_u32_e64 v190, s0, 0, v183, s0
	s_delay_alu instid0(VALU_DEP_3) | instskip(NEXT) | instid1(VALU_DEP_1)
	v_add_f64 v[10:11], v[10:11], v[193:194]
	v_add_f64 v[10:11], v[10:11], v[197:198]
	s_delay_alu instid0(VALU_DEP_1) | instskip(SKIP_4) | instid1(VALU_DEP_1)
	v_add_f64 v[10:11], v[10:11], v[203:204]
	s_waitcnt vmcnt(0)
	v_add_f64 v[6:7], v[6:7], v[22:23]
	scratch_load_b64 v[22:23], off, off offset:484 ; 8-byte Folded Reload
	v_add_f64 v[10:11], v[10:11], v[156:157]
	v_add_f64 v[156:157], v[10:11], v[150:151]
	v_fma_f64 v[10:11], v[227:228], s[14:15], -v[16:17]
	v_fma_f64 v[16:17], v[229:230], s[16:17], v[28:29]
	ds_store_b128 v255, v[152:155] offset:2912
	ds_store_b128 v255, v[247:250] offset:4368
	;; [unrolled: 1-line block ×6, first 2 shown]
	ds_store_b128 v255, v[156:159]
	v_add_f64 v[6:7], v[16:17], v[6:7]
	s_delay_alu instid0(VALU_DEP_1) | instskip(SKIP_3) | instid1(VALU_DEP_1)
	v_add_f64 v[6:7], v[8:9], v[6:7]
	v_fma_f64 v[8:9], v[32:33], s[2:3], v[30:31]
	s_waitcnt vmcnt(0)
	v_add_f64 v[10:11], v[10:11], v[22:23]
	v_add_f64 v[4:5], v[4:5], v[10:11]
	v_fma_f64 v[10:11], v[20:21], s[8:9], v[18:19]
	s_delay_alu instid0(VALU_DEP_2) | instskip(SKIP_1) | instid1(VALU_DEP_3)
	v_add_f64 v[4:5], v[12:13], v[4:5]
	v_fma_f64 v[12:13], v[38:39], s[2:3], -v[34:35]
	v_add_f64 v[6:7], v[10:11], v[6:7]
	s_delay_alu instid0(VALU_DEP_3) | instskip(NEXT) | instid1(VALU_DEP_2)
	v_add_f64 v[4:5], v[14:15], v[4:5]
	v_add_f64 v[148:149], v[8:9], v[6:7]
	s_delay_alu instid0(VALU_DEP_2)
	v_add_f64 v[150:151], v[12:13], v[4:5]
	ds_store_b128 v255, v[128:131] offset:10192
	ds_store_b128 v255, v[132:135] offset:11648
	;; [unrolled: 1-line block ×6, first 2 shown]
	s_waitcnt lgkmcnt(0)
	s_waitcnt_vscnt null, 0x0
	s_barrier
	buffer_gl0_inv
	global_load_b128 v[0:3], v[189:190], off offset:2544
	ds_load_b128 v[152:155], v255
	ds_load_b128 v[156:159], v255 offset:2704
	s_waitcnt vmcnt(0) lgkmcnt(1)
	v_mul_f64 v[4:5], v[154:155], v[2:3]
	v_mul_f64 v[2:3], v[152:153], v[2:3]
	s_delay_alu instid0(VALU_DEP_2) | instskip(NEXT) | instid1(VALU_DEP_2)
	v_fma_f64 v[160:161], v[152:153], v[0:1], -v[4:5]
	v_fma_f64 v[162:163], v[154:155], v[0:1], v[2:3]
	v_add_co_u32 v0, s0, 0x5000, v182
	s_delay_alu instid0(VALU_DEP_1) | instskip(SKIP_1) | instid1(VALU_DEP_1)
	v_add_co_ci_u32_e64 v1, s0, 0, v183, s0
	v_add_co_u32 v152, s0, 0x49f0, v182
	v_add_co_ci_u32_e64 v153, s0, 0, v183, s0
	s_clause 0x1
	global_load_b128 v[0:3], v[0:1], off offset:3856
	global_load_b128 v[164:167], v[152:153], off offset:2704
	s_waitcnt vmcnt(0) lgkmcnt(0)
	v_mul_f64 v[4:5], v[158:159], v[166:167]
	v_mul_f64 v[6:7], v[156:157], v[166:167]
	s_delay_alu instid0(VALU_DEP_2) | instskip(NEXT) | instid1(VALU_DEP_2)
	v_fma_f64 v[154:155], v[156:157], v[164:165], -v[4:5]
	v_fma_f64 v[156:157], v[158:159], v[164:165], v[6:7]
	ds_load_b128 v[164:167], v255 offset:5408
	ds_load_b128 v[168:171], v255 offset:8112
	s_waitcnt lgkmcnt(1)
	v_mul_f64 v[4:5], v[166:167], v[2:3]
	v_mul_f64 v[2:3], v[164:165], v[2:3]
	s_delay_alu instid0(VALU_DEP_2) | instskip(NEXT) | instid1(VALU_DEP_2)
	v_fma_f64 v[164:165], v[164:165], v[0:1], -v[4:5]
	v_fma_f64 v[166:167], v[166:167], v[0:1], v[2:3]
	v_add_co_u32 v0, s0, 0x6000, v182
	s_delay_alu instid0(VALU_DEP_1) | instskip(SKIP_1) | instid1(VALU_DEP_1)
	v_add_co_ci_u32_e64 v1, s0, 0, v183, s0
	v_add_co_u32 v4, s0, 0x7000, v182
	v_add_co_ci_u32_e64 v5, s0, 0, v183, s0
	s_clause 0x1
	global_load_b128 v[0:3], v[0:1], off offset:2464
	global_load_b128 v[172:175], v[4:5], off offset:1072
	s_waitcnt vmcnt(1) lgkmcnt(0)
	v_mul_f64 v[6:7], v[170:171], v[2:3]
	v_mul_f64 v[2:3], v[168:169], v[2:3]
	s_delay_alu instid0(VALU_DEP_2) | instskip(NEXT) | instid1(VALU_DEP_2)
	v_fma_f64 v[168:169], v[168:169], v[0:1], -v[6:7]
	v_fma_f64 v[170:171], v[170:171], v[0:1], v[2:3]
	ds_load_b128 v[0:3], v255 offset:10816
	ds_load_b128 v[176:179], v255 offset:13520
	s_waitcnt vmcnt(0) lgkmcnt(1)
	v_mul_f64 v[6:7], v[2:3], v[174:175]
	v_mul_f64 v[8:9], v[0:1], v[174:175]
	s_delay_alu instid0(VALU_DEP_2) | instskip(SKIP_1) | instid1(VALU_DEP_1)
	v_fma_f64 v[0:1], v[0:1], v[172:173], -v[6:7]
	v_add_co_u32 v6, s0, 0x8000, v182
	v_add_co_ci_u32_e64 v7, s0, 0, v183, s0
	s_delay_alu instid0(VALU_DEP_4)
	v_fma_f64 v[2:3], v[2:3], v[172:173], v[8:9]
	s_clause 0x1
	global_load_b128 v[172:175], v[4:5], off offset:3776
	global_load_b128 v[191:194], v[6:7], off offset:2384
	ds_load_b128 v[195:198], v255 offset:16224
	s_waitcnt vmcnt(1) lgkmcnt(1)
	v_mul_f64 v[4:5], v[178:179], v[174:175]
	v_mul_f64 v[6:7], v[176:177], v[174:175]
	s_delay_alu instid0(VALU_DEP_2) | instskip(NEXT) | instid1(VALU_DEP_2)
	v_fma_f64 v[174:175], v[176:177], v[172:173], -v[4:5]
	v_fma_f64 v[176:177], v[178:179], v[172:173], v[6:7]
	s_waitcnt vmcnt(0) lgkmcnt(0)
	v_mul_f64 v[4:5], v[197:198], v[193:194]
	v_mul_f64 v[6:7], v[195:196], v[193:194]
	s_delay_alu instid0(VALU_DEP_2) | instskip(NEXT) | instid1(VALU_DEP_2)
	v_fma_f64 v[193:194], v[195:196], v[191:192], -v[4:5]
	v_fma_f64 v[195:196], v[197:198], v[191:192], v[6:7]
	ds_store_b128 v255, v[160:163]
	ds_store_b128 v255, v[154:157] offset:2704
	ds_store_b128 v255, v[164:167] offset:5408
	;; [unrolled: 1-line block ×6, first 2 shown]
	s_and_saveexec_b32 s1, vcc_lo
	s_cbranch_execz .LBB0_9
; %bb.8:
	v_add_co_u32 v4, s0, 0x1000, v152
	s_delay_alu instid0(VALU_DEP_1) | instskip(SKIP_1) | instid1(VALU_DEP_1)
	v_add_co_ci_u32_e64 v5, s0, 0, v153, s0
	v_add_co_u32 v6, s0, 0x2000, v152
	v_add_co_ci_u32_e64 v7, s0, 0, v153, s0
	s_clause 0x3
	global_load_b128 v[0:3], v[152:153], off offset:1456
	global_load_b128 v[154:157], v[4:5], off offset:64
	;; [unrolled: 1-line block ×4, first 2 shown]
	v_add_co_u32 v4, s0, 0x3000, v152
	s_delay_alu instid0(VALU_DEP_1) | instskip(SKIP_1) | instid1(VALU_DEP_1)
	v_add_co_ci_u32_e64 v5, s0, 0, v153, s0
	v_add_co_u32 v8, s0, 0x4000, v152
	v_add_co_ci_u32_e64 v9, s0, 0, v153, s0
	s_clause 0x2
	global_load_b128 v[166:169], v[6:7], off offset:4080
	global_load_b128 v[170:173], v[4:5], off offset:2688
	global_load_b128 v[174:177], v[8:9], off offset:1296
	ds_load_b128 v[191:194], v255 offset:1456
	ds_load_b128 v[195:198], v255 offset:4160
	ds_load_b128 v[199:202], v255 offset:6864
	ds_load_b128 v[203:206], v255 offset:9568
	ds_load_b128 v[207:210], v255 offset:12272
	ds_load_b128 v[211:214], v255 offset:14976
	ds_load_b128 v[215:218], v255 offset:17680
	s_waitcnt vmcnt(6) lgkmcnt(6)
	v_mul_f64 v[4:5], v[193:194], v[2:3]
	v_mul_f64 v[2:3], v[191:192], v[2:3]
	s_waitcnt vmcnt(5) lgkmcnt(5)
	v_mul_f64 v[6:7], v[197:198], v[156:157]
	v_mul_f64 v[8:9], v[195:196], v[156:157]
	;; [unrolled: 3-line block ×7, first 2 shown]
	v_fma_f64 v[176:177], v[191:192], v[0:1], -v[4:5]
	v_fma_f64 v[178:179], v[193:194], v[0:1], v[2:3]
	v_fma_f64 v[0:1], v[195:196], v[154:155], -v[6:7]
	v_fma_f64 v[2:3], v[197:198], v[154:155], v[8:9]
	;; [unrolled: 2-line block ×7, first 2 shown]
	ds_store_b128 v255, v[176:179] offset:1456
	ds_store_b128 v255, v[0:3] offset:4160
	;; [unrolled: 1-line block ×7, first 2 shown]
.LBB0_9:
	s_or_b32 exec_lo, exec_lo, s1
	s_waitcnt lgkmcnt(0)
	s_barrier
	buffer_gl0_inv
	ds_load_b128 v[152:155], v255
	ds_load_b128 v[156:159], v255 offset:2704
	ds_load_b128 v[172:175], v255 offset:5408
	;; [unrolled: 1-line block ×6, first 2 shown]
	s_mov_b32 s0, exec_lo
	scratch_load_b32 v251, off, off offset:48 ; 4-byte Folded Reload
	s_and_b32 s1, s0, vcc_lo
	s_delay_alu instid0(SALU_CYCLE_1)
	s_mov_b32 exec_lo, s1
	s_cbranch_execz .LBB0_11
; %bb.10:
	s_waitcnt vmcnt(0)
	v_lshl_add_u32 v0, v251, 4, v105
	ds_load_b128 v[128:131], v255 offset:1456
	ds_load_b128 v[132:135], v0 offset:4160
	;; [unrolled: 1-line block ×7, first 2 shown]
	s_waitcnt lgkmcnt(0)
	scratch_store_b128 off, v[0:3], off     ; 16-byte Folded Spill
.LBB0_11:
	s_or_b32 exec_lo, exec_lo, s0
	s_waitcnt lgkmcnt(0)
	v_add_f64 v[4:5], v[156:157], v[168:169]
	v_add_f64 v[6:7], v[158:159], v[170:171]
	;; [unrolled: 1-line block ×4, first 2 shown]
	v_add_f64 v[0:1], v[172:173], -v[176:177]
	v_add_f64 v[2:3], v[174:175], -v[178:179]
	v_add_f64 v[12:13], v[160:161], v[164:165]
	v_add_f64 v[14:15], v[162:163], v[166:167]
	v_add_f64 v[16:17], v[164:165], -v[160:161]
	v_add_f64 v[18:19], v[166:167], -v[162:163]
	;; [unrolled: 1-line block ×4, first 2 shown]
	s_mov_b32 s2, 0x37e14327
	s_mov_b32 s12, 0xe976ee23
	;; [unrolled: 1-line block ×20, first 2 shown]
	s_waitcnt vmcnt(0)
	s_waitcnt_vscnt null, 0x0
	s_barrier
	buffer_gl0_inv
	v_add_f64 v[24:25], v[8:9], v[4:5]
	v_add_f64 v[26:27], v[10:11], v[6:7]
	v_add_f64 v[28:29], v[4:5], -v[12:13]
	v_add_f64 v[30:31], v[6:7], -v[14:15]
	;; [unrolled: 1-line block ×6, first 2 shown]
	v_add_f64 v[40:41], v[16:17], v[0:1]
	v_add_f64 v[42:43], v[18:19], v[2:3]
	v_add_f64 v[16:17], v[20:21], -v[16:17]
	v_add_f64 v[18:19], v[22:23], -v[18:19]
	;; [unrolled: 1-line block ×4, first 2 shown]
	v_add_f64 v[24:25], v[12:13], v[24:25]
	v_add_f64 v[26:27], v[14:15], v[26:27]
	v_add_f64 v[12:13], v[12:13], -v[8:9]
	v_add_f64 v[14:15], v[14:15], -v[10:11]
	v_mul_f64 v[28:29], v[28:29], s[2:3]
	v_mul_f64 v[30:31], v[30:31], s[2:3]
	;; [unrolled: 1-line block ×6, first 2 shown]
	v_add_f64 v[20:21], v[40:41], v[20:21]
	v_add_f64 v[22:23], v[42:43], v[22:23]
	;; [unrolled: 1-line block ×4, first 2 shown]
	v_mul_f64 v[8:9], v[12:13], s[16:17]
	v_mul_f64 v[10:11], v[14:15], s[16:17]
	v_fma_f64 v[12:13], v[12:13], s[16:17], v[28:29]
	v_fma_f64 v[14:15], v[14:15], s[16:17], v[30:31]
	;; [unrolled: 1-line block ×4, first 2 shown]
	v_fma_f64 v[32:33], v[36:37], s[0:1], -v[32:33]
	v_fma_f64 v[34:35], v[38:39], s[0:1], -v[34:35]
	;; [unrolled: 1-line block ×6, first 2 shown]
	v_fma_f64 v[24:25], v[24:25], s[8:9], v[0:1]
	v_fma_f64 v[26:27], v[26:27], s[8:9], v[2:3]
	v_fma_f64 v[4:5], v[4:5], s[14:15], -v[8:9]
	v_fma_f64 v[6:7], v[6:7], s[14:15], -v[10:11]
	v_fma_f64 v[8:9], v[20:21], s[24:25], v[40:41]
	v_fma_f64 v[10:11], v[22:23], s[24:25], v[42:43]
	;; [unrolled: 1-line block ×6, first 2 shown]
	v_add_f64 v[12:13], v[12:13], v[24:25]
	v_add_f64 v[14:15], v[14:15], v[26:27]
	;; [unrolled: 1-line block ×7, first 2 shown]
	v_add_f64 v[154:155], v[14:15], -v[8:9]
	v_add_f64 v[156:157], v[20:21], v[18:19]
	v_add_f64 v[158:159], v[22:23], -v[16:17]
	v_add_f64 v[160:161], v[4:5], -v[34:35]
	v_add_f64 v[162:163], v[32:33], v[6:7]
	v_add_f64 v[164:165], v[4:5], v[34:35]
	v_add_f64 v[166:167], v[6:7], -v[32:33]
	v_add_f64 v[168:169], v[20:21], -v[18:19]
	v_add_f64 v[170:171], v[16:17], v[22:23]
	v_add_f64 v[172:173], v[12:13], -v[10:11]
	v_add_f64 v[174:175], v[8:9], v[14:15]
	ds_store_b128 v106, v[0:3]
	ds_store_b128 v106, v[152:155] offset:16
	ds_store_b128 v106, v[156:159] offset:32
	ds_store_b128 v106, v[160:163] offset:48
	ds_store_b128 v106, v[164:167] offset:64
	ds_store_b128 v106, v[168:171] offset:80
	ds_store_b128 v106, v[172:175] offset:96
	s_and_saveexec_b32 s26, vcc_lo
	s_cbranch_execz .LBB0_13
; %bb.12:
	scratch_load_b128 v[22:25], off, off    ; 16-byte Folded Reload
	v_add_f64 v[4:5], v[138:139], v[150:151]
	v_add_f64 v[8:9], v[136:137], v[148:149]
	v_add_f64 v[2:3], v[144:145], -v[140:141]
	v_add_f64 v[10:11], v[136:137], -v[148:149]
	v_add_f64 v[12:13], v[142:143], v[146:147]
	v_add_f64 v[14:15], v[140:141], v[144:145]
	v_add_f64 v[20:21], v[146:147], -v[142:143]
	s_delay_alu instid0(VALU_DEP_4) | instskip(NEXT) | instid1(VALU_DEP_1)
	v_add_f64 v[28:29], v[2:3], -v[10:11]
	v_mul_f64 v[28:29], v[28:29], s[12:13]
	s_waitcnt vmcnt(0)
	v_add_f64 v[0:1], v[134:135], v[24:25]
	v_add_f64 v[6:7], v[132:133], v[22:23]
	v_add_f64 v[16:17], v[132:133], -v[22:23]
	v_add_f64 v[22:23], v[138:139], -v[150:151]
	;; [unrolled: 1-line block ×3, first 2 shown]
	v_add_f64 v[18:19], v[4:5], v[0:1]
	v_add_f64 v[26:27], v[8:9], v[6:7]
	v_add_f64 v[30:31], v[0:1], -v[12:13]
	v_add_f64 v[34:35], v[10:11], -v[16:17]
	;; [unrolled: 1-line block ×6, first 2 shown]
	v_add_f64 v[10:11], v[2:3], v[10:11]
	v_add_f64 v[22:23], v[20:21], v[22:23]
	v_add_f64 v[20:21], v[24:25], -v[20:21]
	v_add_f64 v[6:7], v[8:9], -v[6:7]
	v_add_f64 v[18:19], v[12:13], v[18:19]
	v_add_f64 v[12:13], v[12:13], -v[4:5]
	v_add_f64 v[26:27], v[14:15], v[26:27]
	v_add_f64 v[14:15], v[14:15], -v[8:9]
	v_mul_f64 v[30:31], v[30:31], s[2:3]
	v_mul_f64 v[42:43], v[34:35], s[0:1]
	v_add_f64 v[4:5], v[4:5], -v[0:1]
	v_mul_f64 v[32:33], v[32:33], s[2:3]
	v_add_f64 v[10:11], v[10:11], v[16:17]
	v_add_f64 v[16:17], v[22:23], v[24:25]
	v_fma_f64 v[22:23], v[40:41], s[20:21], v[28:29]
	v_fma_f64 v[28:29], v[34:35], s[0:1], -v[28:29]
	v_mul_f64 v[36:37], v[36:37], s[12:13]
	v_mul_f64 v[46:47], v[38:39], s[0:1]
	v_add_f64 v[2:3], v[130:131], v[18:19]
	v_mul_f64 v[44:45], v[12:13], s[16:17]
	v_add_f64 v[0:1], v[128:129], v[26:27]
	v_mul_f64 v[8:9], v[14:15], s[16:17]
	v_fma_f64 v[12:13], v[12:13], s[16:17], v[30:31]
	v_fma_f64 v[24:25], v[40:41], s[22:23], -v[42:43]
	v_fma_f64 v[30:31], v[4:5], s[18:19], -v[30:31]
	v_fma_f64 v[14:15], v[14:15], s[16:17], v[32:33]
	v_fma_f64 v[32:33], v[6:7], s[18:19], -v[32:33]
	v_fma_f64 v[34:35], v[20:21], s[20:21], v[36:37]
	v_fma_f64 v[20:21], v[20:21], s[22:23], -v[46:47]
	v_fma_f64 v[36:37], v[38:39], s[0:1], -v[36:37]
	v_fma_f64 v[18:19], v[18:19], s[8:9], v[2:3]
	v_fma_f64 v[4:5], v[4:5], s[14:15], -v[44:45]
	v_fma_f64 v[26:27], v[26:27], s[8:9], v[0:1]
	;; [unrolled: 2-line block ×3, first 2 shown]
	v_fma_f64 v[22:23], v[10:11], s[24:25], v[24:25]
	v_fma_f64 v[10:11], v[10:11], s[24:25], v[28:29]
	v_fma_f64 v[20:21], v[16:17], s[24:25], v[20:21]
	v_add_f64 v[12:13], v[12:13], v[18:19]
	v_add_f64 v[4:5], v[4:5], v[18:19]
	;; [unrolled: 1-line block ×3, first 2 shown]
	v_fma_f64 v[18:19], v[16:17], s[24:25], v[34:35]
	v_add_f64 v[14:15], v[14:15], v[26:27]
	v_add_f64 v[28:29], v[32:33], v[26:27]
	v_fma_f64 v[16:17], v[16:17], s[24:25], v[36:37]
	v_add_f64 v[6:7], v[6:7], v[26:27]
	v_add_f64 v[146:147], v[12:13], -v[8:9]
	v_add_f64 v[134:135], v[4:5], -v[10:11]
	v_add_f64 v[138:139], v[10:11], v[4:5]
	scratch_load_b32 v4, off, off offset:264 ; 4-byte Folded Reload
	v_add_f64 v[144:145], v[14:15], v[18:19]
	v_add_f64 v[142:143], v[24:25], -v[22:23]
	v_add_f64 v[140:141], v[28:29], v[20:21]
	v_add_f64 v[136:137], v[6:7], -v[16:17]
	v_add_f64 v[132:133], v[6:7], v[16:17]
	v_add_f64 v[130:131], v[22:23], v[24:25]
	v_add_f64 v[128:129], v[28:29], -v[20:21]
	v_add_f64 v[54:55], v[8:9], v[12:13]
	v_add_f64 v[52:53], v[14:15], -v[18:19]
	s_waitcnt vmcnt(0)
	v_lshl_add_u32 v4, v4, 4, v105
	ds_store_b128 v4, v[0:3]
	ds_store_b128 v4, v[144:147] offset:16
	ds_store_b128 v4, v[140:143] offset:32
	;; [unrolled: 1-line block ×6, first 2 shown]
.LBB0_13:
	s_or_b32 exec_lo, exec_lo, s26
	s_waitcnt lgkmcnt(0)
	s_barrier
	buffer_gl0_inv
	ds_load_b128 v[52:55], v255 offset:1456
	ds_load_b128 v[0:3], v255
	scratch_load_b128 v[8:11], off, off offset:168 ; 16-byte Folded Reload
	ds_load_b128 v[28:31], v255 offset:2912
	ds_load_b128 v[128:131], v255 offset:4368
	;; [unrolled: 1-line block ×3, first 2 shown]
	s_mov_b32 s42, 0x4267c47c
	s_mov_b32 s26, 0x42a4c3d2
	;; [unrolled: 1-line block ×35, first 2 shown]
	s_waitcnt vmcnt(0) lgkmcnt(4)
	v_mul_f64 v[4:5], v[10:11], v[54:55]
	v_mul_f64 v[6:7], v[10:11], v[52:53]
	scratch_load_b128 v[10:13], off, off offset:200 ; 16-byte Folded Reload
	v_fma_f64 v[4:5], v[8:9], v[52:53], v[4:5]
	v_fma_f64 v[6:7], v[8:9], v[54:55], -v[6:7]
	s_waitcnt vmcnt(0) lgkmcnt(2)
	v_mul_f64 v[8:9], v[12:13], v[28:29]
	s_delay_alu instid0(VALU_DEP_1) | instskip(SKIP_1) | instid1(VALU_DEP_1)
	v_fma_f64 v[52:53], v[10:11], v[30:31], -v[8:9]
	v_mul_f64 v[8:9], v[12:13], v[30:31]
	v_fma_f64 v[36:37], v[10:11], v[28:29], v[8:9]
	scratch_load_b128 v[10:13], off, off offset:184 ; 16-byte Folded Reload
	s_waitcnt vmcnt(0) lgkmcnt(0)
	v_mul_f64 v[8:9], v[12:13], v[132:133]
	s_delay_alu instid0(VALU_DEP_1) | instskip(SKIP_1) | instid1(VALU_DEP_1)
	v_fma_f64 v[28:29], v[10:11], v[134:135], -v[8:9]
	v_mul_f64 v[8:9], v[12:13], v[134:135]
	v_fma_f64 v[30:31], v[10:11], v[132:133], v[8:9]
	v_mul_f64 v[8:9], v[114:115], v[128:129]
	s_delay_alu instid0(VALU_DEP_2) | instskip(NEXT) | instid1(VALU_DEP_2)
	v_add_f64 v[20:21], v[4:5], v[30:31]
	v_fma_f64 v[54:55], v[112:113], v[130:131], -v[8:9]
	v_mul_f64 v[8:9], v[114:115], v[130:131]
	v_add_f64 v[66:67], v[4:5], -v[30:31]
	s_delay_alu instid0(VALU_DEP_2)
	v_fma_f64 v[112:113], v[112:113], v[128:129], v[8:9]
	ds_load_b128 v[128:131], v255 offset:16016
	ds_load_b128 v[132:135], v255 offset:14560
	scratch_load_b128 v[10:13], off, off offset:232 ; 16-byte Folded Reload
	s_waitcnt vmcnt(0) lgkmcnt(1)
	v_mul_f64 v[8:9], v[12:13], v[128:129]
	s_delay_alu instid0(VALU_DEP_1) | instskip(SKIP_1) | instid1(VALU_DEP_2)
	v_fma_f64 v[32:33], v[10:11], v[130:131], -v[8:9]
	v_mul_f64 v[8:9], v[12:13], v[130:131]
	v_add_f64 v[164:165], v[52:53], -v[32:33]
	s_delay_alu instid0(VALU_DEP_2)
	v_fma_f64 v[34:35], v[10:11], v[128:129], v[8:9]
	scratch_load_b128 v[10:13], off, off offset:460 ; 16-byte Folded Reload
	ds_load_b128 v[104:107], v255 offset:5824
	ds_load_b128 v[128:131], v255 offset:7280
	v_add_f64 v[166:167], v[52:53], v[32:33]
	v_mul_f64 v[233:234], v[164:165], s[30:31]
	v_add_f64 v[136:137], v[36:37], -v[34:35]
	s_delay_alu instid0(VALU_DEP_3) | instskip(SKIP_3) | instid1(VALU_DEP_3)
	v_mul_f64 v[138:139], v[166:167], s[12:13]
	v_mul_f64 v[86:87], v[166:167], s[0:1]
	;; [unrolled: 1-line block ×4, first 2 shown]
	v_fma_f64 v[100:101], v[136:137], s[18:19], v[86:87]
	s_waitcnt vmcnt(0) lgkmcnt(2)
	v_mul_f64 v[8:9], v[12:13], v[132:133]
	s_delay_alu instid0(VALU_DEP_1) | instskip(SKIP_2) | instid1(VALU_DEP_3)
	v_fma_f64 v[38:39], v[10:11], v[134:135], -v[8:9]
	v_mul_f64 v[8:9], v[12:13], v[134:135]
	v_mul_f64 v[134:135], v[164:165], s[26:27]
	v_add_f64 v[168:169], v[54:55], -v[38:39]
	s_delay_alu instid0(VALU_DEP_3)
	v_fma_f64 v[44:45], v[10:11], v[132:133], v[8:9]
	scratch_load_b128 v[10:13], off, off offset:396 ; 16-byte Folded Reload
	v_add_f64 v[132:133], v[36:37], v[34:35]
	v_mul_f64 v[146:147], v[168:169], s[40:41]
	v_add_f64 v[142:143], v[112:113], v[44:45]
	v_add_f64 v[172:173], v[112:113], -v[44:45]
	v_mul_f64 v[102:103], v[168:169], s[28:29]
	v_mul_f64 v[217:218], v[168:169], s[38:39]
	;; [unrolled: 1-line block ×3, first 2 shown]
	s_delay_alu instid0(VALU_DEP_3) | instskip(SKIP_2) | instid1(VALU_DEP_1)
	v_fma_f64 v[180:181], v[142:143], s[8:9], v[102:103]
	s_waitcnt vmcnt(0) lgkmcnt(1)
	v_mul_f64 v[8:9], v[12:13], v[104:105]
	v_fma_f64 v[46:47], v[10:11], v[106:107], -v[8:9]
	v_mul_f64 v[8:9], v[12:13], v[106:107]
	s_delay_alu instid0(VALU_DEP_1) | instskip(SKIP_2) | instid1(VALU_DEP_1)
	v_fma_f64 v[88:89], v[10:11], v[104:105], v[8:9]
	s_waitcnt lgkmcnt(0)
	v_mul_f64 v[8:9], v[110:111], v[130:131]
	v_fma_f64 v[90:91], v[108:109], v[128:129], v[8:9]
	v_mul_f64 v[8:9], v[110:111], v[128:129]
	s_delay_alu instid0(VALU_DEP_1)
	v_fma_f64 v[104:105], v[108:109], v[130:131], -v[8:9]
	ds_load_b128 v[108:111], v255 offset:8736
	ds_load_b128 v[128:131], v255 offset:10192
	scratch_load_b128 v[10:13], off, off offset:412 ; 16-byte Folded Reload
	s_waitcnt vmcnt(0) lgkmcnt(1)
	v_mul_f64 v[8:9], v[12:13], v[110:111]
	s_delay_alu instid0(VALU_DEP_1) | instskip(SKIP_1) | instid1(VALU_DEP_1)
	v_fma_f64 v[106:107], v[10:11], v[108:109], v[8:9]
	v_mul_f64 v[8:9], v[12:13], v[108:109]
	v_fma_f64 v[92:93], v[10:11], v[110:111], -v[8:9]
	s_waitcnt lgkmcnt(0)
	v_mul_f64 v[8:9], v[118:119], v[130:131]
	s_delay_alu instid0(VALU_DEP_1) | instskip(SKIP_1) | instid1(VALU_DEP_1)
	v_fma_f64 v[94:95], v[116:117], v[128:129], v[8:9]
	v_mul_f64 v[8:9], v[118:119], v[128:129]
	v_fma_f64 v[108:109], v[116:117], v[130:131], -v[8:9]
	ds_load_b128 v[114:117], v255 offset:11648
	ds_load_b128 v[128:131], v255 offset:13104
	scratch_load_b128 v[10:13], off, off offset:428 ; 16-byte Folded Reload
	s_waitcnt vmcnt(0) lgkmcnt(1)
	v_mul_f64 v[8:9], v[12:13], v[116:117]
	s_delay_alu instid0(VALU_DEP_1) | instskip(SKIP_2) | instid1(VALU_DEP_2)
	v_fma_f64 v[110:111], v[10:11], v[114:115], v[8:9]
	v_mul_f64 v[8:9], v[12:13], v[114:115]
	v_add_f64 v[114:115], v[2:3], v[6:7]
	v_fma_f64 v[96:97], v[10:11], v[116:117], -v[8:9]
	scratch_load_b128 v[10:13], off, off offset:268 ; 16-byte Folded Reload
	s_waitcnt vmcnt(0) lgkmcnt(0)
	s_barrier
	buffer_gl0_inv
	v_mul_f64 v[8:9], v[12:13], v[128:129]
	s_delay_alu instid0(VALU_DEP_1) | instskip(SKIP_1) | instid1(VALU_DEP_1)
	v_fma_f64 v[98:99], v[10:11], v[130:131], -v[8:9]
	v_mul_f64 v[8:9], v[12:13], v[130:131]
	v_fma_f64 v[56:57], v[10:11], v[128:129], v[8:9]
	v_add_f64 v[8:9], v[6:7], -v[28:29]
	s_delay_alu instid0(VALU_DEP_2) | instskip(NEXT) | instid1(VALU_DEP_2)
	v_add_f64 v[176:177], v[88:89], v[56:57]
	v_mul_f64 v[10:11], v[8:9], s[42:43]
	v_mul_f64 v[12:13], v[8:9], s[26:27]
	;; [unrolled: 1-line block ×6, first 2 shown]
	v_fma_f64 v[22:23], v[20:21], s[16:17], v[10:11]
	v_fma_f64 v[10:11], v[20:21], s[16:17], -v[10:11]
	v_fma_f64 v[24:25], v[20:21], s[12:13], v[12:13]
	v_fma_f64 v[12:13], v[20:21], s[12:13], -v[12:13]
	;; [unrolled: 2-line block ×6, first 2 shown]
	v_add_f64 v[20:21], v[6:7], v[28:29]
	v_add_f64 v[118:119], v[0:1], v[22:23]
	v_add_f64 v[22:23], v[90:91], -v[110:111]
	v_add_f64 v[203:204], v[0:1], v[24:25]
	v_add_f64 v[130:131], v[0:1], v[12:13]
	;; [unrolled: 1-line block ×10, first 2 shown]
	v_mul_f64 v[58:59], v[20:21], s[12:13]
	v_mul_f64 v[50:51], v[20:21], s[16:17]
	;; [unrolled: 1-line block ×6, first 2 shown]
	v_add_f64 v[16:17], v[90:91], v[110:111]
	v_add_f64 v[40:41], v[106:107], v[94:95]
	v_fma_f64 v[70:71], v[66:67], s[36:37], v[58:59]
	v_fma_f64 v[72:73], v[66:67], s[26:27], v[58:59]
	v_add_f64 v[58:59], v[0:1], v[4:5]
	v_add_f64 v[4:5], v[0:1], v[10:11]
	v_fma_f64 v[0:1], v[132:133], s[12:13], -v[134:135]
	v_fma_f64 v[68:69], v[66:67], s[38:39], v[50:51]
	v_fma_f64 v[50:51], v[66:67], s[42:43], v[50:51]
	;; [unrolled: 1-line block ×10, first 2 shown]
	v_add_f64 v[10:11], v[88:89], -v[56:57]
	v_mul_f64 v[66:67], v[166:167], s[8:9]
	v_mul_f64 v[166:167], v[166:167], s[16:17]
	v_add_f64 v[201:202], v[2:3], v[70:71]
	v_add_f64 v[128:129], v[2:3], v[72:73]
	v_mul_f64 v[70:71], v[168:169], s[22:23]
	v_mul_f64 v[168:169], v[168:169], s[34:35]
	v_add_f64 v[0:1], v[0:1], v[4:5]
	v_fma_f64 v[4:5], v[142:143], s[14:15], -v[146:147]
	v_add_f64 v[116:117], v[2:3], v[68:69]
	v_add_f64 v[6:7], v[2:3], v[50:51]
	;; [unrolled: 1-line block ×10, first 2 shown]
	v_fma_f64 v[2:3], v[136:137], s[26:27], v[138:139]
	v_add_f64 v[50:51], v[106:107], -v[94:95]
	v_fma_f64 v[68:69], v[136:137], s[28:29], v[66:67]
	v_fma_f64 v[72:73], v[142:143], s[0:1], v[70:71]
	v_add_f64 v[0:1], v[4:5], v[0:1]
	v_add_f64 v[4:5], v[54:55], v[38:39]
	;; [unrolled: 1-line block ×5, first 2 shown]
	s_delay_alu instid0(VALU_DEP_4) | instskip(SKIP_2) | instid1(VALU_DEP_3)
	v_mul_f64 v[174:175], v[4:5], s[14:15]
	v_mul_f64 v[219:220], v[4:5], s[16:17]
	;; [unrolled: 1-line block ×3, first 2 shown]
	v_fma_f64 v[6:7], v[172:173], s[40:41], v[174:175]
	s_delay_alu instid0(VALU_DEP_1) | instskip(SKIP_1) | instid1(VALU_DEP_1)
	v_add_f64 v[2:3], v[6:7], v[2:3]
	v_add_f64 v[6:7], v[46:47], -v[98:99]
	v_mul_f64 v[178:179], v[6:7], s[20:21]
	v_mul_f64 v[221:222], v[6:7], s[40:41]
	;; [unrolled: 1-line block ×3, first 2 shown]
	s_delay_alu instid0(VALU_DEP_3) | instskip(NEXT) | instid1(VALU_DEP_1)
	v_fma_f64 v[8:9], v[176:177], s[8:9], -v[178:179]
	v_add_f64 v[0:1], v[8:9], v[0:1]
	v_add_f64 v[8:9], v[46:47], v[98:99]
	s_delay_alu instid0(VALU_DEP_1) | instskip(SKIP_2) | instid1(VALU_DEP_3)
	v_mul_f64 v[12:13], v[8:9], s[8:9]
	v_mul_f64 v[223:224], v[8:9], s[14:15]
	;; [unrolled: 1-line block ×3, first 2 shown]
	v_fma_f64 v[14:15], v[10:11], s[20:21], v[12:13]
	s_delay_alu instid0(VALU_DEP_1) | instskip(SKIP_1) | instid1(VALU_DEP_1)
	v_add_f64 v[2:3], v[14:15], v[2:3]
	v_add_f64 v[14:15], v[104:105], -v[96:97]
	v_mul_f64 v[18:19], v[14:15], s[34:35]
	v_mul_f64 v[209:210], v[14:15], s[26:27]
	;; [unrolled: 1-line block ×4, first 2 shown]
	s_delay_alu instid0(VALU_DEP_4) | instskip(NEXT) | instid1(VALU_DEP_1)
	v_fma_f64 v[20:21], v[16:17], s[2:3], -v[18:19]
	v_add_f64 v[0:1], v[20:21], v[0:1]
	v_add_f64 v[20:21], v[104:105], v[96:97]
	s_delay_alu instid0(VALU_DEP_1) | instskip(SKIP_3) | instid1(VALU_DEP_4)
	v_mul_f64 v[24:25], v[20:21], s[2:3]
	v_mul_f64 v[211:212], v[20:21], s[12:13]
	;; [unrolled: 1-line block ×4, first 2 shown]
	v_fma_f64 v[26:27], v[22:23], s[34:35], v[24:25]
	s_delay_alu instid0(VALU_DEP_1) | instskip(SKIP_1) | instid1(VALU_DEP_1)
	v_add_f64 v[2:3], v[26:27], v[2:3]
	v_add_f64 v[26:27], v[92:93], -v[108:109]
	v_mul_f64 v[42:43], v[26:27], s[22:23]
	v_mul_f64 v[213:214], v[26:27], s[34:35]
	;; [unrolled: 1-line block ×4, first 2 shown]
	s_delay_alu instid0(VALU_DEP_4) | instskip(NEXT) | instid1(VALU_DEP_1)
	v_fma_f64 v[48:49], v[40:41], s[0:1], -v[42:43]
	v_add_f64 v[0:1], v[48:49], v[0:1]
	v_add_f64 v[48:49], v[92:93], v[108:109]
	s_delay_alu instid0(VALU_DEP_1) | instskip(SKIP_1) | instid1(VALU_DEP_2)
	v_mul_f64 v[60:61], v[48:49], s[0:1]
	v_mul_f64 v[231:232], v[48:49], s[12:13]
	v_fma_f64 v[62:63], v[50:51], s[22:23], v[60:61]
	s_delay_alu instid0(VALU_DEP_1) | instskip(SKIP_1) | instid1(VALU_DEP_1)
	v_add_f64 v[2:3], v[62:63], v[2:3]
	v_mul_f64 v[62:63], v[164:165], s[20:21]
	v_fma_f64 v[64:65], v[132:133], s[8:9], v[62:63]
	s_delay_alu instid0(VALU_DEP_1) | instskip(NEXT) | instid1(VALU_DEP_1)
	v_add_f64 v[64:65], v[64:65], v[203:204]
	v_add_f64 v[64:65], v[72:73], v[64:65]
	v_mul_f64 v[72:73], v[4:5], s[0:1]
	s_delay_alu instid0(VALU_DEP_1) | instskip(NEXT) | instid1(VALU_DEP_1)
	v_fma_f64 v[74:75], v[172:173], s[18:19], v[72:73]
	v_add_f64 v[68:69], v[74:75], v[68:69]
	v_mul_f64 v[74:75], v[6:7], s[24:25]
	s_delay_alu instid0(VALU_DEP_1) | instskip(NEXT) | instid1(VALU_DEP_1)
	v_fma_f64 v[76:77], v[176:177], s[2:3], v[74:75]
	;; [unrolled: 4-line block ×3, first 2 shown]
	v_add_f64 v[68:69], v[78:79], v[68:69]
	v_mul_f64 v[78:79], v[14:15], s[30:31]
	v_mul_f64 v[14:15], v[14:15], s[20:21]
	s_delay_alu instid0(VALU_DEP_2) | instskip(NEXT) | instid1(VALU_DEP_1)
	v_fma_f64 v[80:81], v[16:17], s[14:15], v[78:79]
	v_add_f64 v[64:65], v[80:81], v[64:65]
	v_mul_f64 v[80:81], v[20:21], s[14:15]
	v_mul_f64 v[20:21], v[20:21], s[8:9]
	s_delay_alu instid0(VALU_DEP_2) | instskip(NEXT) | instid1(VALU_DEP_1)
	v_fma_f64 v[82:83], v[22:23], s[40:41], v[80:81]
	;; [unrolled: 5-line block ×3, first 2 shown]
	v_add_f64 v[201:202], v[84:85], v[64:65]
	v_mul_f64 v[64:65], v[48:49], s[16:17]
	s_delay_alu instid0(VALU_DEP_1) | instskip(NEXT) | instid1(VALU_DEP_1)
	v_fma_f64 v[84:85], v[50:51], s[42:43], v[64:65]
	v_add_f64 v[203:204], v[84:85], v[68:69]
	v_mul_f64 v[68:69], v[164:165], s[22:23]
	s_delay_alu instid0(VALU_DEP_1) | instskip(NEXT) | instid1(VALU_DEP_1)
	v_fma_f64 v[84:85], v[132:133], s[0:1], v[68:69]
	v_add_f64 v[84:85], v[84:85], v[199:200]
	s_delay_alu instid0(VALU_DEP_1) | instskip(SKIP_2) | instid1(VALU_DEP_2)
	v_add_f64 v[84:85], v[180:181], v[84:85]
	v_mul_f64 v[180:181], v[4:5], s[8:9]
	v_mul_f64 v[4:5], v[4:5], s[2:3]
	v_fma_f64 v[184:185], v[172:173], s[20:21], v[180:181]
	s_delay_alu instid0(VALU_DEP_1) | instskip(SKIP_2) | instid1(VALU_DEP_2)
	v_add_f64 v[100:101], v[184:185], v[100:101]
	v_mul_f64 v[184:185], v[6:7], s[38:39]
	v_mul_f64 v[6:7], v[6:7], s[36:37]
	v_fma_f64 v[187:188], v[176:177], s[16:17], v[184:185]
	;; [unrolled: 5-line block ×3, first 2 shown]
	s_delay_alu instid0(VALU_DEP_1) | instskip(SKIP_1) | instid1(VALU_DEP_1)
	v_add_f64 v[100:101], v[197:198], v[100:101]
	v_fma_f64 v[197:198], v[16:17], s[12:13], v[209:210]
	v_add_f64 v[84:85], v[197:198], v[84:85]
	v_fma_f64 v[197:198], v[22:23], s[36:37], v[211:212]
	s_delay_alu instid0(VALU_DEP_1) | instskip(SKIP_1) | instid1(VALU_DEP_1)
	v_add_f64 v[100:101], v[197:198], v[100:101]
	v_fma_f64 v[197:198], v[40:41], s[2:3], v[213:214]
	v_add_f64 v[197:198], v[197:198], v[84:85]
	v_mul_f64 v[84:85], v[48:49], s[2:3]
	s_delay_alu instid0(VALU_DEP_1) | instskip(NEXT) | instid1(VALU_DEP_1)
	v_fma_f64 v[199:200], v[50:51], s[24:25], v[84:85]
	v_add_f64 v[199:200], v[199:200], v[100:101]
	v_mul_f64 v[100:101], v[164:165], s[24:25]
	v_mul_f64 v[164:165], v[164:165], s[38:39]
	s_delay_alu instid0(VALU_DEP_2) | instskip(NEXT) | instid1(VALU_DEP_1)
	v_fma_f64 v[205:206], v[132:133], s[2:3], v[100:101]
	v_add_f64 v[195:196], v[205:206], v[195:196]
	v_fma_f64 v[205:206], v[136:137], s[34:35], v[215:216]
	s_delay_alu instid0(VALU_DEP_1) | instskip(SKIP_1) | instid1(VALU_DEP_1)
	v_add_f64 v[193:194], v[205:206], v[193:194]
	v_fma_f64 v[205:206], v[142:143], s[16:17], v[217:218]
	v_add_f64 v[195:196], v[205:206], v[195:196]
	v_fma_f64 v[205:206], v[172:173], s[42:43], v[219:220]
	s_delay_alu instid0(VALU_DEP_1) | instskip(SKIP_1) | instid1(VALU_DEP_1)
	v_add_f64 v[193:194], v[205:206], v[193:194]
	v_fma_f64 v[205:206], v[176:177], s[14:15], v[221:222]
	v_add_f64 v[195:196], v[205:206], v[195:196]
	v_fma_f64 v[205:206], v[10:11], s[30:31], v[223:224]
	s_delay_alu instid0(VALU_DEP_1) | instskip(SKIP_1) | instid1(VALU_DEP_1)
	v_add_f64 v[193:194], v[205:206], v[193:194]
	v_fma_f64 v[205:206], v[16:17], s[0:1], v[225:226]
	v_add_f64 v[195:196], v[205:206], v[195:196]
	v_fma_f64 v[205:206], v[22:23], s[22:23], v[227:228]
	s_delay_alu instid0(VALU_DEP_1) | instskip(SKIP_1) | instid1(VALU_DEP_1)
	v_add_f64 v[205:206], v[205:206], v[193:194]
	v_fma_f64 v[193:194], v[40:41], s[12:13], v[229:230]
	v_add_f64 v[193:194], v[193:194], v[195:196]
	v_fma_f64 v[195:196], v[50:51], s[26:27], v[231:232]
	s_delay_alu instid0(VALU_DEP_1) | instskip(SKIP_1) | instid1(VALU_DEP_1)
	v_add_f64 v[195:196], v[195:196], v[205:206]
	v_fma_f64 v[205:206], v[132:133], s[14:15], v[233:234]
	v_add_f64 v[170:171], v[205:206], v[170:171]
	v_fma_f64 v[205:206], v[136:137], s[40:41], v[235:236]
	s_delay_alu instid0(VALU_DEP_1) | instskip(SKIP_1) | instid1(VALU_DEP_1)
	v_add_f64 v[191:192], v[205:206], v[191:192]
	v_fma_f64 v[205:206], v[142:143], s[12:13], v[237:238]
	v_add_f64 v[170:171], v[205:206], v[170:171]
	v_fma_f64 v[205:206], v[172:173], s[36:37], v[239:240]
	s_delay_alu instid0(VALU_DEP_1) | instskip(SKIP_1) | instid1(VALU_DEP_1)
	v_add_f64 v[191:192], v[205:206], v[191:192]
	v_fma_f64 v[205:206], v[176:177], s[0:1], v[241:242]
	v_add_f64 v[170:171], v[205:206], v[170:171]
	v_fma_f64 v[205:206], v[10:11], s[22:23], v[243:244]
	s_delay_alu instid0(VALU_DEP_1) | instskip(SKIP_1) | instid1(VALU_DEP_1)
	v_add_f64 v[191:192], v[205:206], v[191:192]
	v_fma_f64 v[205:206], v[16:17], s[16:17], v[245:246]
	v_add_f64 v[170:171], v[205:206], v[170:171]
	v_fma_f64 v[205:206], v[22:23], s[42:43], v[247:248]
	s_delay_alu instid0(VALU_DEP_1) | instskip(SKIP_1) | instid1(VALU_DEP_1)
	v_add_f64 v[191:192], v[205:206], v[191:192]
	v_fma_f64 v[205:206], v[40:41], s[8:9], v[249:250]
	v_add_f64 v[205:206], v[205:206], v[170:171]
	v_mul_f64 v[170:171], v[48:49], s[8:9]
	v_mul_f64 v[48:49], v[48:49], s[14:15]
	s_delay_alu instid0(VALU_DEP_2) | instskip(NEXT) | instid1(VALU_DEP_1)
	v_fma_f64 v[207:208], v[50:51], s[28:29], v[170:171]
	v_add_f64 v[207:208], v[207:208], v[191:192]
	v_fma_f64 v[191:192], v[132:133], s[16:17], v[164:165]
	v_fma_f64 v[164:165], v[132:133], s[16:17], -v[164:165]
	s_delay_alu instid0(VALU_DEP_2) | instskip(SKIP_1) | instid1(VALU_DEP_3)
	v_add_f64 v[162:163], v[191:192], v[162:163]
	v_fma_f64 v[191:192], v[136:137], s[42:43], v[166:167]
	v_add_f64 v[158:159], v[164:165], v[158:159]
	v_fma_f64 v[164:165], v[136:137], s[38:39], v[166:167]
	s_delay_alu instid0(VALU_DEP_3) | instskip(SKIP_1) | instid1(VALU_DEP_3)
	v_add_f64 v[160:161], v[191:192], v[160:161]
	v_fma_f64 v[191:192], v[142:143], s[2:3], v[168:169]
	v_add_f64 v[156:157], v[164:165], v[156:157]
	v_fma_f64 v[164:165], v[142:143], s[2:3], -v[168:169]
	s_delay_alu instid0(VALU_DEP_3) | instskip(SKIP_2) | instid1(VALU_DEP_4)
	v_add_f64 v[162:163], v[191:192], v[162:163]
	v_fma_f64 v[191:192], v[172:173], s[24:25], v[4:5]
	v_fma_f64 v[4:5], v[172:173], s[34:35], v[4:5]
	v_add_f64 v[158:159], v[164:165], v[158:159]
	s_delay_alu instid0(VALU_DEP_3) | instskip(SKIP_1) | instid1(VALU_DEP_4)
	v_add_f64 v[160:161], v[191:192], v[160:161]
	v_fma_f64 v[191:192], v[176:177], s[12:13], v[6:7]
	v_add_f64 v[4:5], v[4:5], v[156:157]
	v_fma_f64 v[6:7], v[176:177], s[12:13], -v[6:7]
	s_delay_alu instid0(VALU_DEP_3) | instskip(SKIP_2) | instid1(VALU_DEP_4)
	v_add_f64 v[162:163], v[191:192], v[162:163]
	v_fma_f64 v[191:192], v[10:11], s[26:27], v[8:9]
	v_fma_f64 v[8:9], v[10:11], s[36:37], v[8:9]
	v_add_f64 v[6:7], v[6:7], v[158:159]
	s_delay_alu instid0(VALU_DEP_3) | instskip(NEXT) | instid1(VALU_DEP_3)
	v_add_f64 v[160:161], v[191:192], v[160:161]
	v_add_f64 v[4:5], v[8:9], v[4:5]
	v_fma_f64 v[8:9], v[16:17], s[8:9], -v[14:15]
	v_fma_f64 v[191:192], v[16:17], s[8:9], v[14:15]
	v_fma_f64 v[14:15], v[50:51], s[30:31], v[48:49]
	s_delay_alu instid0(VALU_DEP_3) | instskip(SKIP_1) | instid1(VALU_DEP_4)
	v_add_f64 v[6:7], v[8:9], v[6:7]
	v_fma_f64 v[8:9], v[22:23], s[20:21], v[20:21]
	v_add_f64 v[162:163], v[191:192], v[162:163]
	v_fma_f64 v[191:192], v[22:23], s[28:29], v[20:21]
	v_fma_f64 v[20:21], v[176:177], s[8:9], v[178:179]
	s_delay_alu instid0(VALU_DEP_4) | instskip(SKIP_1) | instid1(VALU_DEP_4)
	v_add_f64 v[4:5], v[8:9], v[4:5]
	v_fma_f64 v[8:9], v[40:41], s[14:15], -v[26:27]
	v_add_f64 v[191:192], v[191:192], v[160:161]
	v_fma_f64 v[160:161], v[40:41], s[14:15], v[26:27]
	s_delay_alu instid0(VALU_DEP_4)
	v_add_f64 v[158:159], v[14:15], v[4:5]
	v_fma_f64 v[4:5], v[132:133], s[14:15], -v[233:234]
	v_add_f64 v[156:157], v[8:9], v[6:7]
	v_fma_f64 v[6:7], v[136:137], s[30:31], v[235:236]
	v_fma_f64 v[8:9], v[142:143], s[12:13], -v[237:238]
	v_fma_f64 v[14:15], v[50:51], s[20:21], v[170:171]
	v_add_f64 v[160:161], v[160:161], v[162:163]
	v_fma_f64 v[162:163], v[50:51], s[40:41], v[48:49]
	v_add_f64 v[4:5], v[4:5], v[154:155]
	v_add_f64 v[6:7], v[6:7], v[152:153]
	s_delay_alu instid0(VALU_DEP_3) | instskip(NEXT) | instid1(VALU_DEP_3)
	v_add_f64 v[162:163], v[162:163], v[191:192]
	v_add_f64 v[4:5], v[8:9], v[4:5]
	v_fma_f64 v[8:9], v[172:173], s[26:27], v[239:240]
	s_delay_alu instid0(VALU_DEP_1) | instskip(SKIP_1) | instid1(VALU_DEP_1)
	v_add_f64 v[6:7], v[8:9], v[6:7]
	v_fma_f64 v[8:9], v[176:177], s[0:1], -v[241:242]
	v_add_f64 v[4:5], v[8:9], v[4:5]
	v_fma_f64 v[8:9], v[10:11], s[18:19], v[243:244]
	s_delay_alu instid0(VALU_DEP_1) | instskip(SKIP_1) | instid1(VALU_DEP_1)
	v_add_f64 v[6:7], v[8:9], v[6:7]
	v_fma_f64 v[8:9], v[16:17], s[16:17], -v[245:246]
	v_add_f64 v[4:5], v[8:9], v[4:5]
	v_fma_f64 v[8:9], v[22:23], s[38:39], v[247:248]
	s_delay_alu instid0(VALU_DEP_1) | instskip(SKIP_1) | instid1(VALU_DEP_2)
	v_add_f64 v[6:7], v[8:9], v[6:7]
	v_fma_f64 v[8:9], v[40:41], s[8:9], -v[249:250]
	v_add_f64 v[154:155], v[14:15], v[6:7]
	s_delay_alu instid0(VALU_DEP_2) | instskip(SKIP_4) | instid1(VALU_DEP_4)
	v_add_f64 v[152:153], v[8:9], v[4:5]
	v_fma_f64 v[4:5], v[132:133], s[2:3], -v[100:101]
	v_fma_f64 v[6:7], v[136:137], s[24:25], v[215:216]
	v_fma_f64 v[8:9], v[142:143], s[16:17], -v[217:218]
	v_fma_f64 v[14:15], v[50:51], s[36:37], v[231:232]
	v_add_f64 v[4:5], v[4:5], v[150:151]
	s_delay_alu instid0(VALU_DEP_4) | instskip(NEXT) | instid1(VALU_DEP_2)
	v_add_f64 v[6:7], v[6:7], v[148:149]
	v_add_f64 v[4:5], v[8:9], v[4:5]
	v_fma_f64 v[8:9], v[172:173], s[38:39], v[219:220]
	s_delay_alu instid0(VALU_DEP_1) | instskip(SKIP_1) | instid1(VALU_DEP_1)
	v_add_f64 v[6:7], v[8:9], v[6:7]
	v_fma_f64 v[8:9], v[176:177], s[14:15], -v[221:222]
	v_add_f64 v[4:5], v[8:9], v[4:5]
	v_fma_f64 v[8:9], v[10:11], s[40:41], v[223:224]
	s_delay_alu instid0(VALU_DEP_1) | instskip(SKIP_1) | instid1(VALU_DEP_1)
	v_add_f64 v[6:7], v[8:9], v[6:7]
	v_fma_f64 v[8:9], v[16:17], s[0:1], -v[225:226]
	v_add_f64 v[4:5], v[8:9], v[4:5]
	v_fma_f64 v[8:9], v[22:23], s[18:19], v[227:228]
	s_delay_alu instid0(VALU_DEP_1) | instskip(SKIP_1) | instid1(VALU_DEP_2)
	v_add_f64 v[6:7], v[8:9], v[6:7]
	v_fma_f64 v[8:9], v[40:41], s[12:13], -v[229:230]
	v_add_f64 v[150:151], v[14:15], v[6:7]
	s_delay_alu instid0(VALU_DEP_2) | instskip(SKIP_4) | instid1(VALU_DEP_4)
	v_add_f64 v[148:149], v[8:9], v[4:5]
	v_fma_f64 v[4:5], v[132:133], s[0:1], -v[68:69]
	v_fma_f64 v[6:7], v[136:137], s[22:23], v[86:87]
	v_fma_f64 v[8:9], v[142:143], s[8:9], -v[102:103]
	v_fma_f64 v[14:15], v[50:51], s[34:35], v[84:85]
	v_add_f64 v[4:5], v[4:5], v[144:145]
	s_delay_alu instid0(VALU_DEP_4) | instskip(NEXT) | instid1(VALU_DEP_2)
	;; [unrolled: 25-line block ×3, first 2 shown]
	v_add_f64 v[6:7], v[6:7], v[128:129]
	v_add_f64 v[4:5], v[8:9], v[4:5]
	v_fma_f64 v[8:9], v[172:173], s[22:23], v[72:73]
	s_delay_alu instid0(VALU_DEP_1) | instskip(SKIP_1) | instid1(VALU_DEP_1)
	v_add_f64 v[6:7], v[8:9], v[6:7]
	v_fma_f64 v[8:9], v[176:177], s[2:3], -v[74:75]
	v_add_f64 v[4:5], v[8:9], v[4:5]
	v_fma_f64 v[8:9], v[10:11], s[24:25], v[76:77]
	s_delay_alu instid0(VALU_DEP_1) | instskip(SKIP_1) | instid1(VALU_DEP_1)
	v_add_f64 v[6:7], v[8:9], v[6:7]
	v_fma_f64 v[8:9], v[16:17], s[14:15], -v[78:79]
	v_add_f64 v[4:5], v[8:9], v[4:5]
	v_fma_f64 v[8:9], v[22:23], s[30:31], v[80:81]
	s_delay_alu instid0(VALU_DEP_1) | instskip(SKIP_1) | instid1(VALU_DEP_2)
	v_add_f64 v[6:7], v[8:9], v[6:7]
	v_fma_f64 v[8:9], v[40:41], s[16:17], -v[82:83]
	v_add_f64 v[130:131], v[14:15], v[6:7]
	s_delay_alu instid0(VALU_DEP_2) | instskip(SKIP_4) | instid1(VALU_DEP_4)
	v_add_f64 v[128:129], v[8:9], v[4:5]
	v_fma_f64 v[4:5], v[132:133], s[12:13], v[134:135]
	v_fma_f64 v[6:7], v[136:137], s[36:37], v[138:139]
	;; [unrolled: 1-line block ×4, first 2 shown]
	v_add_f64 v[4:5], v[4:5], v[118:119]
	s_delay_alu instid0(VALU_DEP_4) | instskip(NEXT) | instid1(VALU_DEP_2)
	v_add_f64 v[6:7], v[6:7], v[116:117]
	v_add_f64 v[4:5], v[8:9], v[4:5]
	v_fma_f64 v[8:9], v[10:11], s[28:29], v[12:13]
	s_delay_alu instid0(VALU_DEP_3) | instskip(SKIP_3) | instid1(VALU_DEP_4)
	v_add_f64 v[6:7], v[14:15], v[6:7]
	v_fma_f64 v[10:11], v[16:17], s[2:3], v[18:19]
	v_fma_f64 v[12:13], v[22:23], s[24:25], v[24:25]
	v_add_f64 v[4:5], v[20:21], v[4:5]
	v_add_f64 v[6:7], v[8:9], v[6:7]
	v_fma_f64 v[8:9], v[40:41], s[0:1], v[42:43]
	s_delay_alu instid0(VALU_DEP_3) | instskip(SKIP_1) | instid1(VALU_DEP_4)
	v_add_f64 v[4:5], v[10:11], v[4:5]
	v_fma_f64 v[10:11], v[50:51], s[18:19], v[60:61]
	v_add_f64 v[6:7], v[12:13], v[6:7]
	s_delay_alu instid0(VALU_DEP_3) | instskip(SKIP_1) | instid1(VALU_DEP_3)
	v_add_f64 v[116:117], v[8:9], v[4:5]
	v_add_f64 v[4:5], v[58:59], v[36:37]
	;; [unrolled: 1-line block ×4, first 2 shown]
	s_delay_alu instid0(VALU_DEP_3) | instskip(NEXT) | instid1(VALU_DEP_2)
	v_add_f64 v[4:5], v[4:5], v[112:113]
	v_add_f64 v[6:7], v[6:7], v[54:55]
	s_delay_alu instid0(VALU_DEP_2) | instskip(NEXT) | instid1(VALU_DEP_2)
	v_add_f64 v[4:5], v[4:5], v[88:89]
	v_add_f64 v[6:7], v[6:7], v[46:47]
	s_delay_alu instid0(VALU_DEP_2) | instskip(NEXT) | instid1(VALU_DEP_2)
	;; [unrolled: 3-line block ×9, first 2 shown]
	v_add_f64 v[30:31], v[4:5], v[30:31]
	v_add_f64 v[32:33], v[6:7], v[28:29]
	ds_store_b128 v186, v[201:204] offset:224
	ds_store_b128 v186, v[197:200] offset:336
	;; [unrolled: 1-line block ×12, first 2 shown]
	ds_store_b128 v186, v[30:33]
	s_waitcnt lgkmcnt(0)
	s_barrier
	buffer_gl0_inv
	ds_load_b128 v[28:31], v255 offset:1456
	ds_load_b128 v[0:3], v255
	scratch_load_b128 v[8:11], off, off offset:216 ; 16-byte Folded Reload
	s_waitcnt vmcnt(0) lgkmcnt(1)
	v_mul_f64 v[4:5], v[10:11], v[30:31]
	v_mul_f64 v[6:7], v[10:11], v[28:29]
	s_delay_alu instid0(VALU_DEP_2) | instskip(NEXT) | instid1(VALU_DEP_2)
	v_fma_f64 v[4:5], v[8:9], v[28:29], v[4:5]
	v_fma_f64 v[6:7], v[8:9], v[30:31], -v[6:7]
	ds_load_b128 v[28:31], v255 offset:2912
	ds_load_b128 v[40:43], v255 offset:4368
	scratch_load_b128 v[10:13], off, off offset:248 ; 16-byte Folded Reload
	s_waitcnt vmcnt(0) lgkmcnt(1)
	v_mul_f64 v[8:9], v[12:13], v[28:29]
	s_delay_alu instid0(VALU_DEP_1)
	v_fma_f64 v[34:35], v[10:11], v[30:31], -v[8:9]
	v_mul_f64 v[8:9], v[12:13], v[30:31]
	ds_load_b128 v[30:33], v255 offset:17472
	v_fma_f64 v[38:39], v[10:11], v[28:29], v[8:9]
	scratch_load_b128 v[10:13], off, off offset:348 ; 16-byte Folded Reload
	s_waitcnt vmcnt(0) lgkmcnt(0)
	v_mul_f64 v[8:9], v[12:13], v[30:31]
	s_delay_alu instid0(VALU_DEP_1) | instskip(SKIP_1) | instid1(VALU_DEP_1)
	v_fma_f64 v[28:29], v[10:11], v[32:33], -v[8:9]
	v_mul_f64 v[8:9], v[12:13], v[32:33]
	v_fma_f64 v[30:31], v[10:11], v[30:31], v[8:9]
	scratch_load_b128 v[10:13], off, off offset:444 ; 16-byte Folded Reload
	v_add_f64 v[20:21], v[4:5], v[30:31]
	s_waitcnt vmcnt(0)
	v_mul_f64 v[8:9], v[12:13], v[40:41]
	s_delay_alu instid0(VALU_DEP_1) | instskip(SKIP_1) | instid1(VALU_DEP_1)
	v_fma_f64 v[44:45], v[10:11], v[42:43], -v[8:9]
	v_mul_f64 v[8:9], v[12:13], v[42:43]
	v_fma_f64 v[46:47], v[10:11], v[40:41], v[8:9]
	ds_load_b128 v[40:43], v255 offset:16016
	ds_load_b128 v[48:51], v255 offset:14560
	scratch_load_b128 v[10:13], off, off offset:284 ; 16-byte Folded Reload
	s_waitcnt vmcnt(0) lgkmcnt(1)
	v_mul_f64 v[8:9], v[12:13], v[40:41]
	s_delay_alu instid0(VALU_DEP_1) | instskip(SKIP_1) | instid1(VALU_DEP_2)
	v_fma_f64 v[32:33], v[10:11], v[42:43], -v[8:9]
	v_mul_f64 v[8:9], v[12:13], v[42:43]
	v_add_f64 v[116:117], v[34:35], -v[32:33]
	s_delay_alu instid0(VALU_DEP_2) | instskip(SKIP_2) | instid1(VALU_DEP_3)
	v_fma_f64 v[36:37], v[10:11], v[40:41], v[8:9]
	s_waitcnt lgkmcnt(0)
	v_mul_f64 v[8:9], v[126:127], v[48:49]
	v_mul_f64 v[170:171], v[116:117], s[20:21]
	s_delay_alu instid0(VALU_DEP_2) | instskip(SKIP_1) | instid1(VALU_DEP_1)
	v_fma_f64 v[40:41], v[124:125], v[50:51], -v[8:9]
	v_mul_f64 v[8:9], v[126:127], v[50:51]
	v_fma_f64 v[42:43], v[124:125], v[48:49], v[8:9]
	ds_load_b128 v[48:51], v255 offset:5824
	ds_load_b128 v[58:61], v255 offset:7280
	scratch_load_b128 v[10:13], off, off offset:316 ; 16-byte Folded Reload
	ds_load_b128 v[68:71], v255 offset:13104
	ds_load_b128 v[76:79], v255 offset:11648
	s_waitcnt vmcnt(0) lgkmcnt(3)
	v_mul_f64 v[8:9], v[12:13], v[50:51]
	s_delay_alu instid0(VALU_DEP_1) | instskip(SKIP_1) | instid1(VALU_DEP_1)
	v_fma_f64 v[52:53], v[10:11], v[48:49], v[8:9]
	v_mul_f64 v[8:9], v[12:13], v[48:49]
	v_fma_f64 v[54:55], v[10:11], v[50:51], -v[8:9]
	scratch_load_b128 v[10:13], off, off offset:364 ; 16-byte Folded Reload
	s_waitcnt lgkmcnt(1)
	v_mul_f64 v[8:9], v[122:123], v[70:71]
	s_delay_alu instid0(VALU_DEP_1) | instskip(SKIP_1) | instid1(VALU_DEP_2)
	v_fma_f64 v[48:49], v[120:121], v[68:69], v[8:9]
	v_mul_f64 v[8:9], v[122:123], v[68:69]
	v_add_f64 v[136:137], v[52:53], v[48:49]
	s_delay_alu instid0(VALU_DEP_2)
	v_fma_f64 v[50:51], v[120:121], v[70:71], -v[8:9]
	ds_load_b128 v[68:71], v255 offset:8736
	ds_load_b128 v[80:83], v255 offset:10192
	v_add_f64 v[142:143], v[52:53], -v[48:49]
	v_add_f64 v[134:135], v[54:55], -v[50:51]
	v_add_f64 v[140:141], v[54:55], v[50:51]
	s_delay_alu instid0(VALU_DEP_2) | instskip(NEXT) | instid1(VALU_DEP_2)
	v_mul_f64 v[138:139], v[134:135], s[20:21]
	v_mul_f64 v[144:145], v[140:141], s[8:9]
	;; [unrolled: 1-line block ×12, first 2 shown]
	s_waitcnt vmcnt(0)
	v_mul_f64 v[8:9], v[12:13], v[60:61]
	s_delay_alu instid0(VALU_DEP_1) | instskip(SKIP_1) | instid1(VALU_DEP_1)
	v_fma_f64 v[56:57], v[10:11], v[58:59], v[8:9]
	v_mul_f64 v[8:9], v[12:13], v[58:59]
	v_fma_f64 v[58:59], v[10:11], v[60:61], -v[8:9]
	scratch_load_b128 v[10:13], off, off offset:300 ; 16-byte Folded Reload
	s_waitcnt vmcnt(0) lgkmcnt(1)
	v_mul_f64 v[8:9], v[12:13], v[70:71]
	s_delay_alu instid0(VALU_DEP_1) | instskip(SKIP_1) | instid1(VALU_DEP_1)
	v_fma_f64 v[60:61], v[10:11], v[68:69], v[8:9]
	v_mul_f64 v[8:9], v[12:13], v[68:69]
	v_fma_f64 v[62:63], v[10:11], v[70:71], -v[8:9]
	scratch_load_b128 v[10:13], off, off offset:380 ; 16-byte Folded Reload
	s_waitcnt vmcnt(0) lgkmcnt(0)
	v_mul_f64 v[8:9], v[12:13], v[82:83]
	s_delay_alu instid0(VALU_DEP_1) | instskip(SKIP_1) | instid1(VALU_DEP_2)
	v_fma_f64 v[64:65], v[10:11], v[80:81], v[8:9]
	v_mul_f64 v[8:9], v[12:13], v[80:81]
	v_add_f64 v[160:161], v[60:61], v[64:65]
	s_delay_alu instid0(VALU_DEP_2)
	v_fma_f64 v[66:67], v[10:11], v[82:83], -v[8:9]
	scratch_load_b128 v[10:13], off, off offset:332 ; 16-byte Folded Reload
	v_add_f64 v[82:83], v[4:5], -v[30:31]
	v_add_f64 v[166:167], v[60:61], -v[64:65]
	;; [unrolled: 1-line block ×3, first 2 shown]
	v_add_f64 v[164:165], v[62:63], v[66:67]
	s_delay_alu instid0(VALU_DEP_2) | instskip(NEXT) | instid1(VALU_DEP_2)
	v_mul_f64 v[162:163], v[158:159], s[22:23]
	v_mul_f64 v[168:169], v[164:165], s[0:1]
	;; [unrolled: 1-line block ×7, first 2 shown]
	s_waitcnt vmcnt(0)
	v_mul_f64 v[8:9], v[12:13], v[78:79]
	s_delay_alu instid0(VALU_DEP_1) | instskip(SKIP_1) | instid1(VALU_DEP_2)
	v_fma_f64 v[68:69], v[10:11], v[76:77], v[8:9]
	v_mul_f64 v[8:9], v[12:13], v[76:77]
	v_add_f64 v[148:149], v[56:57], v[68:69]
	s_delay_alu instid0(VALU_DEP_2) | instskip(SKIP_2) | instid1(VALU_DEP_3)
	v_fma_f64 v[70:71], v[10:11], v[78:79], -v[8:9]
	v_add_f64 v[8:9], v[6:7], -v[28:29]
	v_add_f64 v[154:155], v[56:57], -v[68:69]
	;; [unrolled: 1-line block ×3, first 2 shown]
	s_delay_alu instid0(VALU_DEP_3)
	v_mul_f64 v[10:11], v[8:9], s[42:43]
	v_mul_f64 v[12:13], v[8:9], s[26:27]
	;; [unrolled: 1-line block ×6, first 2 shown]
	v_add_f64 v[152:153], v[58:59], v[70:71]
	v_mul_f64 v[150:151], v[146:147], s[34:35]
	v_fma_f64 v[22:23], v[20:21], s[16:17], v[10:11]
	v_fma_f64 v[10:11], v[20:21], s[16:17], -v[10:11]
	v_fma_f64 v[24:25], v[20:21], s[12:13], v[12:13]
	v_fma_f64 v[12:13], v[20:21], s[12:13], -v[12:13]
	;; [unrolled: 2-line block ×6, first 2 shown]
	v_add_f64 v[20:21], v[6:7], v[28:29]
	v_mul_f64 v[156:157], v[152:153], s[2:3]
	v_mul_f64 v[184:185], v[146:147], s[30:31]
	;; [unrolled: 1-line block ×11, first 2 shown]
	v_add_f64 v[114:115], v[0:1], v[92:93]
	v_add_f64 v[92:93], v[38:39], -v[36:37]
	v_mul_f64 v[72:73], v[20:21], s[16:17]
	v_mul_f64 v[78:79], v[20:21], s[8:9]
	;; [unrolled: 1-line block ×6, first 2 shown]
	v_fma_f64 v[90:91], v[82:83], s[42:43], v[72:73]
	v_fma_f64 v[102:103], v[82:83], s[28:29], v[78:79]
	;; [unrolled: 1-line block ×12, first 2 shown]
	v_add_f64 v[74:75], v[2:3], v[6:7]
	v_add_f64 v[82:83], v[0:1], v[12:13]
	;; [unrolled: 1-line block ×14, first 2 shown]
	v_mul_f64 v[86:87], v[116:117], s[26:27]
	v_add_f64 v[130:131], v[2:3], v[106:107]
	v_add_f64 v[106:107], v[0:1], v[18:19]
	;; [unrolled: 1-line block ×13, first 2 shown]
	v_add_f64 v[18:19], v[46:47], -v[42:43]
	v_fma_f64 v[0:1], v[84:85], s[12:13], -v[86:87]
	s_delay_alu instid0(VALU_DEP_1) | instskip(SKIP_1) | instid1(VALU_DEP_1)
	v_add_f64 v[0:1], v[0:1], v[4:5]
	v_add_f64 v[4:5], v[34:35], v[32:33]
	v_mul_f64 v[94:95], v[4:5], s[12:13]
	v_mul_f64 v[172:173], v[4:5], s[8:9]
	;; [unrolled: 1-line block ×6, first 2 shown]
	v_fma_f64 v[2:3], v[92:93], s[26:27], v[94:95]
	s_delay_alu instid0(VALU_DEP_1) | instskip(SKIP_1) | instid1(VALU_DEP_1)
	v_add_f64 v[2:3], v[2:3], v[6:7]
	v_add_f64 v[6:7], v[44:45], -v[40:41]
	v_mul_f64 v[98:99], v[6:7], s[40:41]
	v_mul_f64 v[174:175], v[6:7], s[22:23]
	;; [unrolled: 1-line block ×6, first 2 shown]
	v_fma_f64 v[8:9], v[96:97], s[14:15], -v[98:99]
	s_delay_alu instid0(VALU_DEP_1) | instskip(SKIP_1) | instid1(VALU_DEP_1)
	v_add_f64 v[0:1], v[8:9], v[0:1]
	v_add_f64 v[8:9], v[44:45], v[40:41]
	v_mul_f64 v[20:21], v[8:9], s[14:15]
	v_mul_f64 v[176:177], v[8:9], s[0:1]
	;; [unrolled: 1-line block ×6, first 2 shown]
	v_fma_f64 v[118:119], v[18:19], s[40:41], v[20:21]
	s_delay_alu instid0(VALU_DEP_1) | instskip(SKIP_1) | instid1(VALU_DEP_1)
	v_add_f64 v[2:3], v[118:119], v[2:3]
	v_fma_f64 v[118:119], v[136:137], s[8:9], -v[138:139]
	v_add_f64 v[0:1], v[118:119], v[0:1]
	v_fma_f64 v[118:119], v[142:143], s[20:21], v[144:145]
	s_delay_alu instid0(VALU_DEP_1) | instskip(SKIP_1) | instid1(VALU_DEP_1)
	v_add_f64 v[2:3], v[118:119], v[2:3]
	v_fma_f64 v[118:119], v[148:149], s[2:3], -v[150:151]
	v_add_f64 v[0:1], v[118:119], v[0:1]
	;; [unrolled: 5-line block ×3, first 2 shown]
	v_fma_f64 v[118:119], v[166:167], s[22:23], v[168:169]
	s_delay_alu instid0(VALU_DEP_1) | instskip(SKIP_1) | instid1(VALU_DEP_1)
	v_add_f64 v[2:3], v[118:119], v[2:3]
	v_fma_f64 v[118:119], v[84:85], s[8:9], v[170:171]
	v_add_f64 v[10:11], v[118:119], v[10:11]
	v_fma_f64 v[118:119], v[92:93], s[28:29], v[172:173]
	s_delay_alu instid0(VALU_DEP_1) | instskip(SKIP_1) | instid1(VALU_DEP_1)
	v_add_f64 v[22:23], v[118:119], v[22:23]
	v_fma_f64 v[118:119], v[96:97], s[0:1], v[174:175]
	v_add_f64 v[10:11], v[118:119], v[10:11]
	;; [unrolled: 5-line block ×5, first 2 shown]
	v_mul_f64 v[10:11], v[164:165], s[16:17]
	s_delay_alu instid0(VALU_DEP_1) | instskip(SKIP_1) | instid1(VALU_DEP_2)
	v_fma_f64 v[120:121], v[166:167], s[42:43], v[10:11]
	v_fma_f64 v[10:11], v[166:167], s[38:39], v[10:11]
	v_add_f64 v[120:121], v[120:121], v[22:23]
	v_mul_f64 v[22:23], v[116:117], s[22:23]
	s_delay_alu instid0(VALU_DEP_1) | instskip(NEXT) | instid1(VALU_DEP_1)
	v_fma_f64 v[122:123], v[84:85], s[0:1], v[22:23]
	v_add_f64 v[12:13], v[122:123], v[12:13]
	v_fma_f64 v[122:123], v[92:93], s[18:19], v[193:194]
	s_delay_alu instid0(VALU_DEP_1) | instskip(SKIP_1) | instid1(VALU_DEP_1)
	v_add_f64 v[24:25], v[122:123], v[24:25]
	v_fma_f64 v[122:123], v[96:97], s[8:9], v[195:196]
	v_add_f64 v[12:13], v[122:123], v[12:13]
	v_fma_f64 v[122:123], v[18:19], s[20:21], v[197:198]
	s_delay_alu instid0(VALU_DEP_1) | instskip(SKIP_1) | instid1(VALU_DEP_1)
	v_add_f64 v[24:25], v[122:123], v[24:25]
	;; [unrolled: 5-line block ×4, first 2 shown]
	v_fma_f64 v[122:123], v[160:161], s[2:3], v[207:208]
	v_add_f64 v[122:123], v[122:123], v[12:13]
	v_mul_f64 v[12:13], v[164:165], s[2:3]
	s_delay_alu instid0(VALU_DEP_1) | instskip(SKIP_1) | instid1(VALU_DEP_2)
	v_fma_f64 v[124:125], v[166:167], s[24:25], v[12:13]
	v_fma_f64 v[12:13], v[166:167], s[34:35], v[12:13]
	v_add_f64 v[124:125], v[124:125], v[24:25]
	v_mul_f64 v[24:25], v[116:117], s[24:25]
	s_delay_alu instid0(VALU_DEP_1) | instskip(NEXT) | instid1(VALU_DEP_1)
	v_fma_f64 v[126:127], v[84:85], s[2:3], v[24:25]
	v_add_f64 v[14:15], v[126:127], v[14:15]
	v_fma_f64 v[126:127], v[92:93], s[34:35], v[209:210]
	s_delay_alu instid0(VALU_DEP_1) | instskip(SKIP_1) | instid1(VALU_DEP_1)
	v_add_f64 v[26:27], v[126:127], v[26:27]
	v_fma_f64 v[126:127], v[96:97], s[16:17], v[211:212]
	v_add_f64 v[14:15], v[126:127], v[14:15]
	v_fma_f64 v[126:127], v[18:19], s[42:43], v[213:214]
	s_delay_alu instid0(VALU_DEP_1) | instskip(SKIP_1) | instid1(VALU_DEP_1)
	v_add_f64 v[26:27], v[126:127], v[26:27]
	;; [unrolled: 5-line block ×4, first 2 shown]
	v_fma_f64 v[126:127], v[160:161], s[12:13], v[223:224]
	v_add_f64 v[126:127], v[126:127], v[14:15]
	v_mul_f64 v[14:15], v[164:165], s[12:13]
	s_delay_alu instid0(VALU_DEP_1) | instskip(SKIP_1) | instid1(VALU_DEP_2)
	v_fma_f64 v[128:129], v[166:167], s[26:27], v[14:15]
	v_fma_f64 v[14:15], v[166:167], s[36:37], v[14:15]
	v_add_f64 v[128:129], v[128:129], v[26:27]
	v_mul_f64 v[26:27], v[116:117], s[30:31]
	v_mul_f64 v[116:117], v[116:117], s[38:39]
	s_delay_alu instid0(VALU_DEP_2) | instskip(NEXT) | instid1(VALU_DEP_1)
	v_fma_f64 v[132:133], v[84:85], s[14:15], v[26:27]
	v_add_f64 v[16:17], v[132:133], v[16:17]
	v_fma_f64 v[132:133], v[92:93], s[40:41], v[225:226]
	s_delay_alu instid0(VALU_DEP_1) | instskip(SKIP_1) | instid1(VALU_DEP_1)
	v_add_f64 v[130:131], v[132:133], v[130:131]
	v_fma_f64 v[132:133], v[96:97], s[12:13], v[227:228]
	v_add_f64 v[16:17], v[132:133], v[16:17]
	v_fma_f64 v[132:133], v[18:19], s[36:37], v[229:230]
	s_delay_alu instid0(VALU_DEP_1) | instskip(SKIP_1) | instid1(VALU_DEP_1)
	v_add_f64 v[130:131], v[132:133], v[130:131]
	;; [unrolled: 5-line block ×4, first 2 shown]
	v_fma_f64 v[130:131], v[160:161], s[8:9], v[239:240]
	v_add_f64 v[130:131], v[130:131], v[16:17]
	v_mul_f64 v[16:17], v[164:165], s[8:9]
	v_mul_f64 v[164:165], v[164:165], s[14:15]
	s_delay_alu instid0(VALU_DEP_2) | instskip(SKIP_1) | instid1(VALU_DEP_2)
	v_fma_f64 v[241:242], v[166:167], s[28:29], v[16:17]
	v_fma_f64 v[16:17], v[166:167], s[20:21], v[16:17]
	v_add_f64 v[132:133], v[241:242], v[132:133]
	v_fma_f64 v[241:242], v[84:85], s[16:17], v[116:117]
	v_fma_f64 v[116:117], v[84:85], s[16:17], -v[116:117]
	s_delay_alu instid0(VALU_DEP_2) | instskip(SKIP_2) | instid1(VALU_DEP_4)
	v_add_f64 v[114:115], v[241:242], v[114:115]
	v_fma_f64 v[241:242], v[92:93], s[42:43], v[4:5]
	v_fma_f64 v[4:5], v[92:93], s[38:39], v[4:5]
	v_add_f64 v[110:111], v[116:117], v[110:111]
	s_delay_alu instid0(VALU_DEP_3) | instskip(SKIP_1) | instid1(VALU_DEP_4)
	v_add_f64 v[112:113], v[241:242], v[112:113]
	v_fma_f64 v[241:242], v[96:97], s[2:3], v[6:7]
	v_add_f64 v[4:5], v[4:5], v[108:109]
	v_fma_f64 v[6:7], v[96:97], s[2:3], -v[6:7]
	s_delay_alu instid0(VALU_DEP_3) | instskip(SKIP_2) | instid1(VALU_DEP_4)
	v_add_f64 v[114:115], v[241:242], v[114:115]
	v_fma_f64 v[241:242], v[18:19], s[24:25], v[8:9]
	v_fma_f64 v[8:9], v[18:19], s[34:35], v[8:9]
	v_add_f64 v[6:7], v[6:7], v[110:111]
	v_fma_f64 v[110:111], v[166:167], s[30:31], v[164:165]
	s_delay_alu instid0(VALU_DEP_4) | instskip(NEXT) | instid1(VALU_DEP_4)
	v_add_f64 v[112:113], v[241:242], v[112:113]
	v_add_f64 v[4:5], v[8:9], v[4:5]
	v_fma_f64 v[8:9], v[136:137], s[12:13], -v[134:135]
	v_fma_f64 v[241:242], v[136:137], s[12:13], v[134:135]
	s_delay_alu instid0(VALU_DEP_2) | instskip(SKIP_1) | instid1(VALU_DEP_3)
	v_add_f64 v[6:7], v[8:9], v[6:7]
	v_fma_f64 v[8:9], v[142:143], s[36:37], v[140:141]
	v_add_f64 v[114:115], v[241:242], v[114:115]
	v_fma_f64 v[241:242], v[142:143], s[26:27], v[140:141]
	s_delay_alu instid0(VALU_DEP_3) | instskip(SKIP_1) | instid1(VALU_DEP_3)
	v_add_f64 v[4:5], v[8:9], v[4:5]
	v_fma_f64 v[8:9], v[148:149], s[8:9], -v[146:147]
	v_add_f64 v[112:113], v[241:242], v[112:113]
	v_fma_f64 v[241:242], v[148:149], s[8:9], v[146:147]
	s_delay_alu instid0(VALU_DEP_3) | instskip(SKIP_1) | instid1(VALU_DEP_3)
	v_add_f64 v[6:7], v[8:9], v[6:7]
	v_fma_f64 v[8:9], v[154:155], s[20:21], v[152:153]
	v_add_f64 v[114:115], v[241:242], v[114:115]
	v_fma_f64 v[241:242], v[154:155], s[28:29], v[152:153]
	s_delay_alu instid0(VALU_DEP_3) | instskip(SKIP_1) | instid1(VALU_DEP_3)
	v_add_f64 v[4:5], v[8:9], v[4:5]
	v_fma_f64 v[8:9], v[160:161], s[14:15], -v[158:159]
	v_add_f64 v[241:242], v[241:242], v[112:113]
	v_fma_f64 v[112:113], v[160:161], s[14:15], v[158:159]
	s_delay_alu instid0(VALU_DEP_4)
	v_add_f64 v[110:111], v[110:111], v[4:5]
	v_fma_f64 v[4:5], v[84:85], s[14:15], -v[26:27]
	v_add_f64 v[108:109], v[8:9], v[6:7]
	v_fma_f64 v[6:7], v[92:93], s[30:31], v[225:226]
	v_fma_f64 v[8:9], v[96:97], s[12:13], -v[227:228]
	v_add_f64 v[112:113], v[112:113], v[114:115]
	v_fma_f64 v[114:115], v[166:167], s[40:41], v[164:165]
	v_add_f64 v[4:5], v[4:5], v[106:107]
	v_add_f64 v[6:7], v[6:7], v[104:105]
	s_delay_alu instid0(VALU_DEP_3) | instskip(NEXT) | instid1(VALU_DEP_3)
	v_add_f64 v[114:115], v[114:115], v[241:242]
	v_add_f64 v[4:5], v[8:9], v[4:5]
	v_fma_f64 v[8:9], v[18:19], s[26:27], v[229:230]
	s_delay_alu instid0(VALU_DEP_1) | instskip(SKIP_1) | instid1(VALU_DEP_1)
	v_add_f64 v[6:7], v[8:9], v[6:7]
	v_fma_f64 v[8:9], v[136:137], s[0:1], -v[231:232]
	v_add_f64 v[4:5], v[8:9], v[4:5]
	v_fma_f64 v[8:9], v[142:143], s[18:19], v[233:234]
	s_delay_alu instid0(VALU_DEP_1) | instskip(SKIP_1) | instid1(VALU_DEP_1)
	v_add_f64 v[6:7], v[8:9], v[6:7]
	v_fma_f64 v[8:9], v[148:149], s[16:17], -v[235:236]
	v_add_f64 v[4:5], v[8:9], v[4:5]
	v_fma_f64 v[8:9], v[154:155], s[38:39], v[237:238]
	s_delay_alu instid0(VALU_DEP_1) | instskip(SKIP_1) | instid1(VALU_DEP_2)
	v_add_f64 v[6:7], v[8:9], v[6:7]
	v_fma_f64 v[8:9], v[160:161], s[8:9], -v[239:240]
	v_add_f64 v[106:107], v[16:17], v[6:7]
	s_delay_alu instid0(VALU_DEP_2) | instskip(SKIP_3) | instid1(VALU_DEP_3)
	v_add_f64 v[104:105], v[8:9], v[4:5]
	v_fma_f64 v[4:5], v[84:85], s[2:3], -v[24:25]
	v_fma_f64 v[6:7], v[92:93], s[24:25], v[209:210]
	v_fma_f64 v[8:9], v[96:97], s[16:17], -v[211:212]
	v_add_f64 v[4:5], v[4:5], v[102:103]
	s_delay_alu instid0(VALU_DEP_3) | instskip(NEXT) | instid1(VALU_DEP_2)
	v_add_f64 v[6:7], v[6:7], v[100:101]
	v_add_f64 v[4:5], v[8:9], v[4:5]
	v_fma_f64 v[8:9], v[18:19], s[38:39], v[213:214]
	s_delay_alu instid0(VALU_DEP_1) | instskip(SKIP_1) | instid1(VALU_DEP_1)
	v_add_f64 v[6:7], v[8:9], v[6:7]
	v_fma_f64 v[8:9], v[136:137], s[14:15], -v[215:216]
	v_add_f64 v[4:5], v[8:9], v[4:5]
	v_fma_f64 v[8:9], v[142:143], s[40:41], v[217:218]
	s_delay_alu instid0(VALU_DEP_1) | instskip(SKIP_1) | instid1(VALU_DEP_1)
	v_add_f64 v[6:7], v[8:9], v[6:7]
	v_fma_f64 v[8:9], v[148:149], s[0:1], -v[219:220]
	v_add_f64 v[4:5], v[8:9], v[4:5]
	v_fma_f64 v[8:9], v[154:155], s[18:19], v[221:222]
	s_delay_alu instid0(VALU_DEP_1) | instskip(SKIP_1) | instid1(VALU_DEP_2)
	v_add_f64 v[6:7], v[8:9], v[6:7]
	v_fma_f64 v[8:9], v[160:161], s[12:13], -v[223:224]
	v_add_f64 v[102:103], v[14:15], v[6:7]
	s_delay_alu instid0(VALU_DEP_2) | instskip(SKIP_4) | instid1(VALU_DEP_4)
	v_add_f64 v[100:101], v[8:9], v[4:5]
	v_fma_f64 v[4:5], v[84:85], s[0:1], -v[22:23]
	v_fma_f64 v[6:7], v[92:93], s[22:23], v[193:194]
	v_fma_f64 v[8:9], v[96:97], s[8:9], -v[195:196]
	v_fma_f64 v[14:15], v[142:143], s[28:29], v[144:145]
	v_add_f64 v[4:5], v[4:5], v[90:91]
	s_delay_alu instid0(VALU_DEP_4) | instskip(NEXT) | instid1(VALU_DEP_2)
	v_add_f64 v[6:7], v[6:7], v[88:89]
	v_add_f64 v[4:5], v[8:9], v[4:5]
	v_fma_f64 v[8:9], v[18:19], s[28:29], v[197:198]
	s_delay_alu instid0(VALU_DEP_1) | instskip(SKIP_1) | instid1(VALU_DEP_1)
	v_add_f64 v[6:7], v[8:9], v[6:7]
	v_fma_f64 v[8:9], v[136:137], s[16:17], -v[199:200]
	v_add_f64 v[4:5], v[8:9], v[4:5]
	v_fma_f64 v[8:9], v[142:143], s[38:39], v[201:202]
	s_delay_alu instid0(VALU_DEP_1) | instskip(SKIP_1) | instid1(VALU_DEP_1)
	v_add_f64 v[6:7], v[8:9], v[6:7]
	v_fma_f64 v[8:9], v[148:149], s[12:13], -v[203:204]
	v_add_f64 v[4:5], v[8:9], v[4:5]
	v_fma_f64 v[8:9], v[154:155], s[26:27], v[205:206]
	s_delay_alu instid0(VALU_DEP_1) | instskip(SKIP_1) | instid1(VALU_DEP_2)
	v_add_f64 v[6:7], v[8:9], v[6:7]
	v_fma_f64 v[8:9], v[160:161], s[2:3], -v[207:208]
	v_add_f64 v[90:91], v[12:13], v[6:7]
	s_delay_alu instid0(VALU_DEP_2) | instskip(SKIP_4) | instid1(VALU_DEP_4)
	v_add_f64 v[88:89], v[8:9], v[4:5]
	v_fma_f64 v[4:5], v[84:85], s[8:9], -v[170:171]
	v_fma_f64 v[6:7], v[92:93], s[20:21], v[172:173]
	v_fma_f64 v[8:9], v[96:97], s[0:1], -v[174:175]
	v_fma_f64 v[12:13], v[136:137], s[8:9], v[138:139]
	v_add_f64 v[4:5], v[4:5], v[82:83]
	s_delay_alu instid0(VALU_DEP_4) | instskip(NEXT) | instid1(VALU_DEP_2)
	v_add_f64 v[6:7], v[6:7], v[80:81]
	v_add_f64 v[4:5], v[8:9], v[4:5]
	v_fma_f64 v[8:9], v[18:19], s[22:23], v[176:177]
	s_delay_alu instid0(VALU_DEP_1) | instskip(SKIP_1) | instid1(VALU_DEP_1)
	v_add_f64 v[6:7], v[8:9], v[6:7]
	v_fma_f64 v[8:9], v[136:137], s[2:3], -v[178:179]
	v_add_f64 v[4:5], v[8:9], v[4:5]
	v_fma_f64 v[8:9], v[142:143], s[24:25], v[180:181]
	s_delay_alu instid0(VALU_DEP_1) | instskip(SKIP_1) | instid1(VALU_DEP_1)
	v_add_f64 v[6:7], v[8:9], v[6:7]
	v_fma_f64 v[8:9], v[148:149], s[14:15], -v[184:185]
	v_add_f64 v[4:5], v[8:9], v[4:5]
	v_fma_f64 v[8:9], v[154:155], s[30:31], v[186:187]
	s_delay_alu instid0(VALU_DEP_1) | instskip(SKIP_1) | instid1(VALU_DEP_2)
	v_add_f64 v[6:7], v[8:9], v[6:7]
	v_fma_f64 v[8:9], v[160:161], s[16:17], -v[191:192]
	v_add_f64 v[82:83], v[10:11], v[6:7]
	s_delay_alu instid0(VALU_DEP_2) | instskip(SKIP_4) | instid1(VALU_DEP_4)
	v_add_f64 v[80:81], v[8:9], v[4:5]
	v_fma_f64 v[4:5], v[84:85], s[12:13], v[86:87]
	v_fma_f64 v[6:7], v[92:93], s[36:37], v[94:95]
	;; [unrolled: 1-line block ×4, first 2 shown]
	v_add_f64 v[4:5], v[4:5], v[76:77]
	s_delay_alu instid0(VALU_DEP_4) | instskip(NEXT) | instid1(VALU_DEP_2)
	v_add_f64 v[6:7], v[6:7], v[78:79]
	v_add_f64 v[4:5], v[8:9], v[4:5]
	s_delay_alu instid0(VALU_DEP_2) | instskip(SKIP_4) | instid1(VALU_DEP_4)
	v_add_f64 v[6:7], v[10:11], v[6:7]
	v_fma_f64 v[8:9], v[148:149], s[2:3], v[150:151]
	v_fma_f64 v[10:11], v[154:155], s[24:25], v[156:157]
	s_mov_b32 s2, 0x43156c6a
	s_mov_b32 s3, 0x3f4bb2f6
	v_add_f64 v[4:5], v[12:13], v[4:5]
	s_delay_alu instid0(VALU_DEP_4) | instskip(SKIP_4) | instid1(VALU_DEP_4)
	v_add_f64 v[6:7], v[14:15], v[6:7]
	v_fma_f64 v[12:13], v[160:161], s[0:1], v[162:163]
	v_fma_f64 v[14:15], v[166:167], s[18:19], v[168:169]
	s_mul_i32 s0, s5, 0xa9
	s_mul_hi_u32 s1, s4, 0xa9
	v_add_f64 v[4:5], v[8:9], v[4:5]
	s_delay_alu instid0(VALU_DEP_4) | instskip(NEXT) | instid1(VALU_DEP_2)
	v_add_f64 v[6:7], v[10:11], v[6:7]
	v_add_f64 v[76:77], v[12:13], v[4:5]
	s_delay_alu instid0(VALU_DEP_2) | instskip(SKIP_2) | instid1(VALU_DEP_2)
	v_add_f64 v[78:79], v[14:15], v[6:7]
	v_add_f64 v[4:5], v[72:73], v[38:39]
	;; [unrolled: 1-line block ×4, first 2 shown]
	s_delay_alu instid0(VALU_DEP_2) | instskip(NEXT) | instid1(VALU_DEP_2)
	v_add_f64 v[6:7], v[6:7], v[44:45]
	v_add_f64 v[4:5], v[4:5], v[52:53]
	s_delay_alu instid0(VALU_DEP_2) | instskip(NEXT) | instid1(VALU_DEP_2)
	v_add_f64 v[6:7], v[6:7], v[54:55]
	v_add_f64 v[4:5], v[4:5], v[56:57]
	;; [unrolled: 3-line block ×9, first 2 shown]
	s_delay_alu instid0(VALU_DEP_2)
	v_add_f64 v[32:33], v[6:7], v[28:29]
	ds_store_b128 v255, v[118:121] offset:2912
	ds_store_b128 v255, v[122:125] offset:4368
	;; [unrolled: 1-line block ×12, first 2 shown]
	ds_store_b128 v255, v[30:33]
	s_waitcnt lgkmcnt(0)
	s_barrier
	buffer_gl0_inv
	ds_load_b128 v[0:3], v255
	ds_load_b128 v[28:31], v255 offset:2704
	s_clause 0x5
	scratch_load_b128 v[10:13], off, off offset:56
	scratch_load_b128 v[14:17], off, off offset:72
	;; [unrolled: 1-line block ×6, first 2 shown]
	s_waitcnt vmcnt(5) lgkmcnt(1)
	v_mul_f64 v[4:5], v[12:13], v[2:3]
	v_mul_f64 v[6:7], v[12:13], v[0:1]
	s_delay_alu instid0(VALU_DEP_2) | instskip(NEXT) | instid1(VALU_DEP_2)
	v_fma_f64 v[8:9], v[10:11], v[0:1], v[4:5]
	v_fma_f64 v[10:11], v[10:11], v[2:3], -v[6:7]
	s_waitcnt vmcnt(4) lgkmcnt(0)
	v_mul_f64 v[4:5], v[16:17], v[30:31]
	v_mul_f64 v[6:7], v[16:17], v[28:29]
	ds_load_b128 v[0:3], v255 offset:5408
	v_fma_f64 v[12:13], v[14:15], v[28:29], v[4:5]
	v_fma_f64 v[14:15], v[14:15], v[30:31], -v[6:7]
	ds_load_b128 v[4:7], v255 offset:8112
	scratch_load_b128 v[28:31], off, off offset:152 ; 16-byte Folded Reload
	s_waitcnt vmcnt(4) lgkmcnt(1)
	v_mul_f64 v[16:17], v[22:23], v[2:3]
	v_mul_f64 v[18:19], v[22:23], v[0:1]
	s_waitcnt vmcnt(3) lgkmcnt(0)
	v_mul_f64 v[22:23], v[26:27], v[4:5]
	s_delay_alu instid0(VALU_DEP_3) | instskip(NEXT) | instid1(VALU_DEP_3)
	v_fma_f64 v[16:17], v[20:21], v[0:1], v[16:17]
	v_fma_f64 v[18:19], v[20:21], v[2:3], -v[18:19]
	v_mul_f64 v[20:21], v[26:27], v[6:7]
	ds_load_b128 v[0:3], v255 offset:10816
	v_fma_f64 v[22:23], v[24:25], v[6:7], -v[22:23]
	v_fma_f64 v[20:21], v[24:25], v[4:5], v[20:21]
	ds_load_b128 v[4:7], v255 offset:13520
	s_waitcnt vmcnt(0) lgkmcnt(1)
	v_mul_f64 v[24:25], v[30:31], v[2:3]
	v_mul_f64 v[26:27], v[30:31], v[0:1]
	s_waitcnt lgkmcnt(0)
	v_mul_f64 v[30:31], v[34:35], v[4:5]
	s_delay_alu instid0(VALU_DEP_3) | instskip(NEXT) | instid1(VALU_DEP_3)
	v_fma_f64 v[24:25], v[28:29], v[0:1], v[24:25]
	v_fma_f64 v[26:27], v[28:29], v[2:3], -v[26:27]
	v_mul_f64 v[28:29], v[34:35], v[6:7]
	s_delay_alu instid0(VALU_DEP_4)
	v_fma_f64 v[30:31], v[32:33], v[6:7], -v[30:31]
	ds_load_b128 v[0:3], v255 offset:16224
	v_mad_u64_u32 v[34:35], null, s4, v251, 0
	v_fma_f64 v[28:29], v[32:33], v[4:5], v[28:29]
	scratch_load_b64 v[32:33], off, off offset:40 ; 8-byte Folded Reload
	s_waitcnt lgkmcnt(0)
	v_mul_f64 v[4:5], v[38:39], v[2:3]
	v_mul_f64 v[6:7], v[38:39], v[0:1]
	s_delay_alu instid0(VALU_DEP_2) | instskip(NEXT) | instid1(VALU_DEP_2)
	v_fma_f64 v[0:1], v[36:37], v[0:1], v[4:5]
	v_fma_f64 v[36:37], v[36:37], v[2:3], -v[6:7]
	s_waitcnt vmcnt(0)
	v_dual_mov_b32 v3, v35 :: v_dual_mov_b32 v38, v32
	s_delay_alu instid0(VALU_DEP_1) | instskip(SKIP_1) | instid1(VALU_DEP_1)
	v_mad_u64_u32 v[32:33], null, s6, v38, 0
	s_mul_i32 s6, s4, 0xa9
	v_mov_b32_e32 v2, v33
	s_delay_alu instid0(VALU_DEP_1) | instskip(SKIP_1) | instid1(SALU_CYCLE_1)
	v_mad_u64_u32 v[4:5], null, s7, v38, v[2:3]
	s_add_i32 s7, s1, s0
	s_lshl_b64 s[6:7], s[6:7], 4
	s_delay_alu instid0(VALU_DEP_1) | instskip(SKIP_3) | instid1(VALU_DEP_4)
	v_mov_b32_e32 v33, v4
	v_mad_u64_u32 v[5:6], null, s5, v251, v[3:4]
	v_mul_f64 v[6:7], v[12:13], s[2:3]
	v_mul_f64 v[12:13], v[18:19], s[2:3]
	v_lshlrev_b64 v[2:3], 4, v[32:33]
	v_mul_f64 v[18:19], v[24:25], s[2:3]
	v_mul_f64 v[24:25], v[30:31], s[2:3]
	v_mov_b32_e32 v35, v5
	v_mul_f64 v[4:5], v[10:11], s[2:3]
	v_mul_f64 v[10:11], v[16:17], s[2:3]
	;; [unrolled: 1-line block ×4, first 2 shown]
	v_lshlrev_b64 v[32:33], 4, v[34:35]
	v_add_co_u32 v34, s0, s10, v2
	s_delay_alu instid0(VALU_DEP_1) | instskip(SKIP_2) | instid1(VALU_DEP_4)
	v_add_co_ci_u32_e64 v35, s0, s11, v3, s0
	v_mul_f64 v[2:3], v[8:9], s[2:3]
	v_mul_f64 v[8:9], v[14:15], s[2:3]
	v_add_co_u32 v30, s0, v34, v32
	v_mul_f64 v[14:15], v[20:21], s[2:3]
	v_add_co_ci_u32_e64 v31, s0, v35, v33, s0
	v_mul_f64 v[20:21], v[26:27], s[2:3]
	v_mul_f64 v[26:27], v[0:1], s[2:3]
	;; [unrolled: 1-line block ×3, first 2 shown]
	v_add_co_u32 v32, s0, v30, s6
	s_delay_alu instid0(VALU_DEP_1) | instskip(NEXT) | instid1(VALU_DEP_2)
	v_add_co_ci_u32_e64 v33, s0, s7, v31, s0
	v_add_co_u32 v34, s0, v32, s6
	s_delay_alu instid0(VALU_DEP_1) | instskip(NEXT) | instid1(VALU_DEP_2)
	v_add_co_ci_u32_e64 v35, s0, s7, v33, s0
	;; [unrolled: 3-line block ×5, first 2 shown]
	v_add_co_u32 v0, s0, v40, s6
	s_delay_alu instid0(VALU_DEP_1)
	v_add_co_ci_u32_e64 v1, s0, s7, v41, s0
	s_clause 0x4
	global_store_b128 v[30:31], v[2:5], off
	global_store_b128 v[32:33], v[6:9], off
	;; [unrolled: 1-line block ×7, first 2 shown]
	s_and_b32 exec_lo, exec_lo, vcc_lo
	s_cbranch_execz .LBB0_15
; %bb.14:
	global_load_b128 v[2:5], v[182:183], off offset:1456
	scratch_load_b64 v[10:11], off, off offset:24 ; 8-byte Folded Reload
	s_mul_i32 s0, s5, 0xffffc650
	s_waitcnt vmcnt(0)
	s_clause 0x1
	global_load_b128 v[6:9], v[10:11], off offset:64
	global_load_b128 v[10:13], v[10:11], off offset:2768
	scratch_load_b64 v[18:19], off, off offset:32 ; 8-byte Folded Reload
	s_sub_i32 s0, s0, s4
	s_waitcnt vmcnt(0)
	s_clause 0x1
	global_load_b128 v[14:17], v[18:19], off offset:1376
	global_load_b128 v[18:21], v[18:19], off offset:4080
	ds_load_b128 v[22:25], v255 offset:1456
	ds_load_b128 v[26:29], v255 offset:4160
	;; [unrolled: 1-line block ×6, first 2 shown]
	s_waitcnt lgkmcnt(5)
	v_mul_f64 v[46:47], v[24:25], v[4:5]
	v_mul_f64 v[4:5], v[22:23], v[4:5]
	s_waitcnt lgkmcnt(4)
	v_mul_f64 v[48:49], v[28:29], v[8:9]
	v_mul_f64 v[8:9], v[26:27], v[8:9]
	;; [unrolled: 3-line block ×3, first 2 shown]
	v_fma_f64 v[22:23], v[22:23], v[2:3], v[46:47]
	v_fma_f64 v[4:5], v[2:3], v[24:25], -v[4:5]
	v_fma_f64 v[24:25], v[26:27], v[6:7], v[48:49]
	v_fma_f64 v[8:9], v[6:7], v[28:29], -v[8:9]
	;; [unrolled: 2-line block ×3, first 2 shown]
	v_mul_f64 v[2:3], v[22:23], s[2:3]
	v_mul_f64 v[4:5], v[4:5], s[2:3]
	;; [unrolled: 1-line block ×6, first 2 shown]
	v_mad_u64_u32 v[22:23], null, 0xffffc650, s4, v[0:1]
	s_delay_alu instid0(VALU_DEP_1) | instskip(NEXT) | instid1(VALU_DEP_2)
	v_add_nc_u32_e32 v23, s0, v23
	v_add_co_u32 v0, vcc_lo, v22, s6
	s_delay_alu instid0(VALU_DEP_2) | instskip(NEXT) | instid1(VALU_DEP_2)
	v_add_co_ci_u32_e32 v1, vcc_lo, s7, v23, vcc_lo
	v_add_co_u32 v24, vcc_lo, v0, s6
	s_delay_alu instid0(VALU_DEP_2) | instskip(NEXT) | instid1(VALU_DEP_2)
	v_add_co_ci_u32_e32 v25, vcc_lo, s7, v1, vcc_lo
	v_add_co_u32 v26, vcc_lo, v24, s6
	s_delay_alu instid0(VALU_DEP_2)
	v_add_co_ci_u32_e32 v27, vcc_lo, s7, v25, vcc_lo
	s_waitcnt vmcnt(1) lgkmcnt(2)
	v_mul_f64 v[52:53], v[36:37], v[16:17]
	v_mul_f64 v[16:17], v[34:35], v[16:17]
	s_waitcnt vmcnt(0) lgkmcnt(1)
	v_mul_f64 v[54:55], v[40:41], v[20:21]
	v_mul_f64 v[20:21], v[38:39], v[20:21]
	s_delay_alu instid0(VALU_DEP_4) | instskip(NEXT) | instid1(VALU_DEP_4)
	v_fma_f64 v[28:29], v[34:35], v[14:15], v[52:53]
	v_fma_f64 v[16:17], v[14:15], v[36:37], -v[16:17]
	s_delay_alu instid0(VALU_DEP_4) | instskip(NEXT) | instid1(VALU_DEP_4)
	v_fma_f64 v[30:31], v[38:39], v[18:19], v[54:55]
	v_fma_f64 v[20:21], v[18:19], v[40:41], -v[20:21]
	s_delay_alu instid0(VALU_DEP_4) | instskip(NEXT) | instid1(VALU_DEP_4)
	v_mul_f64 v[14:15], v[28:29], s[2:3]
	v_mul_f64 v[16:17], v[16:17], s[2:3]
	s_delay_alu instid0(VALU_DEP_4) | instskip(NEXT) | instid1(VALU_DEP_4)
	v_mul_f64 v[18:19], v[30:31], s[2:3]
	v_mul_f64 v[20:21], v[20:21], s[2:3]
	v_add_co_u32 v28, vcc_lo, v26, s6
	v_add_co_ci_u32_e32 v29, vcc_lo, s7, v27, vcc_lo
	global_store_b128 v[22:23], v[2:5], off
	global_store_b128 v[0:1], v[6:9], off
	;; [unrolled: 1-line block ×5, first 2 shown]
	scratch_load_b64 v[0:1], off, off offset:16 ; 8-byte Folded Reload
	v_add_co_u32 v8, vcc_lo, v28, s6
	v_add_co_ci_u32_e32 v9, vcc_lo, s7, v29, vcc_lo
	s_waitcnt vmcnt(0)
	global_load_b128 v[0:3], v[0:1], off offset:2688
	s_waitcnt vmcnt(0) lgkmcnt(0)
	v_mul_f64 v[4:5], v[44:45], v[2:3]
	v_mul_f64 v[2:3], v[42:43], v[2:3]
	s_delay_alu instid0(VALU_DEP_2) | instskip(NEXT) | instid1(VALU_DEP_2)
	v_fma_f64 v[4:5], v[42:43], v[0:1], v[4:5]
	v_fma_f64 v[2:3], v[0:1], v[44:45], -v[2:3]
	s_delay_alu instid0(VALU_DEP_2) | instskip(NEXT) | instid1(VALU_DEP_2)
	v_mul_f64 v[0:1], v[4:5], s[2:3]
	v_mul_f64 v[2:3], v[2:3], s[2:3]
	ds_load_b128 v[4:7], v255 offset:17680
	global_store_b128 v[8:9], v[0:3], off
	global_load_b128 v[0:3], v[189:190], off offset:1296
	s_waitcnt vmcnt(0) lgkmcnt(0)
	v_mul_f64 v[10:11], v[6:7], v[2:3]
	v_mul_f64 v[2:3], v[4:5], v[2:3]
	s_delay_alu instid0(VALU_DEP_2) | instskip(NEXT) | instid1(VALU_DEP_2)
	v_fma_f64 v[4:5], v[4:5], v[0:1], v[10:11]
	v_fma_f64 v[2:3], v[0:1], v[6:7], -v[2:3]
	s_delay_alu instid0(VALU_DEP_2) | instskip(NEXT) | instid1(VALU_DEP_2)
	v_mul_f64 v[0:1], v[4:5], s[2:3]
	v_mul_f64 v[2:3], v[2:3], s[2:3]
	v_add_co_u32 v4, vcc_lo, v8, s6
	v_add_co_ci_u32_e32 v5, vcc_lo, s7, v9, vcc_lo
	global_store_b128 v[4:5], v[0:3], off
.LBB0_15:
	s_nop 0
	s_sendmsg sendmsg(MSG_DEALLOC_VGPRS)
	s_endpgm
	.section	.rodata,"a",@progbits
	.p2align	6, 0x0
	.amdhsa_kernel bluestein_single_back_len1183_dim1_dp_op_CI_CI
		.amdhsa_group_segment_fixed_size 37856
		.amdhsa_private_segment_fixed_size 528
		.amdhsa_kernarg_size 104
		.amdhsa_user_sgpr_count 15
		.amdhsa_user_sgpr_dispatch_ptr 0
		.amdhsa_user_sgpr_queue_ptr 0
		.amdhsa_user_sgpr_kernarg_segment_ptr 1
		.amdhsa_user_sgpr_dispatch_id 0
		.amdhsa_user_sgpr_private_segment_size 0
		.amdhsa_wavefront_size32 1
		.amdhsa_uses_dynamic_stack 0
		.amdhsa_enable_private_segment 1
		.amdhsa_system_sgpr_workgroup_id_x 1
		.amdhsa_system_sgpr_workgroup_id_y 0
		.amdhsa_system_sgpr_workgroup_id_z 0
		.amdhsa_system_sgpr_workgroup_info 0
		.amdhsa_system_vgpr_workitem_id 0
		.amdhsa_next_free_vgpr 256
		.amdhsa_next_free_sgpr 46
		.amdhsa_reserve_vcc 1
		.amdhsa_float_round_mode_32 0
		.amdhsa_float_round_mode_16_64 0
		.amdhsa_float_denorm_mode_32 3
		.amdhsa_float_denorm_mode_16_64 3
		.amdhsa_dx10_clamp 1
		.amdhsa_ieee_mode 1
		.amdhsa_fp16_overflow 0
		.amdhsa_workgroup_processor_mode 1
		.amdhsa_memory_ordered 1
		.amdhsa_forward_progress 0
		.amdhsa_shared_vgpr_count 0
		.amdhsa_exception_fp_ieee_invalid_op 0
		.amdhsa_exception_fp_denorm_src 0
		.amdhsa_exception_fp_ieee_div_zero 0
		.amdhsa_exception_fp_ieee_overflow 0
		.amdhsa_exception_fp_ieee_underflow 0
		.amdhsa_exception_fp_ieee_inexact 0
		.amdhsa_exception_int_div_zero 0
	.end_amdhsa_kernel
	.text
.Lfunc_end0:
	.size	bluestein_single_back_len1183_dim1_dp_op_CI_CI, .Lfunc_end0-bluestein_single_back_len1183_dim1_dp_op_CI_CI
                                        ; -- End function
	.section	.AMDGPU.csdata,"",@progbits
; Kernel info:
; codeLenInByte = 26732
; NumSgprs: 48
; NumVgprs: 256
; ScratchSize: 528
; MemoryBound: 0
; FloatMode: 240
; IeeeMode: 1
; LDSByteSize: 37856 bytes/workgroup (compile time only)
; SGPRBlocks: 5
; VGPRBlocks: 31
; NumSGPRsForWavesPerEU: 48
; NumVGPRsForWavesPerEU: 256
; Occupancy: 5
; WaveLimiterHint : 1
; COMPUTE_PGM_RSRC2:SCRATCH_EN: 1
; COMPUTE_PGM_RSRC2:USER_SGPR: 15
; COMPUTE_PGM_RSRC2:TRAP_HANDLER: 0
; COMPUTE_PGM_RSRC2:TGID_X_EN: 1
; COMPUTE_PGM_RSRC2:TGID_Y_EN: 0
; COMPUTE_PGM_RSRC2:TGID_Z_EN: 0
; COMPUTE_PGM_RSRC2:TIDIG_COMP_CNT: 0
	.text
	.p2alignl 7, 3214868480
	.fill 96, 4, 3214868480
	.type	__hip_cuid_421fddd2828ddca0,@object ; @__hip_cuid_421fddd2828ddca0
	.section	.bss,"aw",@nobits
	.globl	__hip_cuid_421fddd2828ddca0
__hip_cuid_421fddd2828ddca0:
	.byte	0                               ; 0x0
	.size	__hip_cuid_421fddd2828ddca0, 1

	.ident	"AMD clang version 19.0.0git (https://github.com/RadeonOpenCompute/llvm-project roc-6.4.0 25133 c7fe45cf4b819c5991fe208aaa96edf142730f1d)"
	.section	".note.GNU-stack","",@progbits
	.addrsig
	.addrsig_sym __hip_cuid_421fddd2828ddca0
	.amdgpu_metadata
---
amdhsa.kernels:
  - .args:
      - .actual_access:  read_only
        .address_space:  global
        .offset:         0
        .size:           8
        .value_kind:     global_buffer
      - .actual_access:  read_only
        .address_space:  global
        .offset:         8
        .size:           8
        .value_kind:     global_buffer
      - .actual_access:  read_only
        .address_space:  global
        .offset:         16
        .size:           8
        .value_kind:     global_buffer
      - .actual_access:  read_only
        .address_space:  global
        .offset:         24
        .size:           8
        .value_kind:     global_buffer
      - .actual_access:  read_only
        .address_space:  global
        .offset:         32
        .size:           8
        .value_kind:     global_buffer
      - .offset:         40
        .size:           8
        .value_kind:     by_value
      - .address_space:  global
        .offset:         48
        .size:           8
        .value_kind:     global_buffer
      - .address_space:  global
        .offset:         56
        .size:           8
        .value_kind:     global_buffer
      - .address_space:  global
        .offset:         64
        .size:           8
        .value_kind:     global_buffer
      - .address_space:  global
        .offset:         72
        .size:           8
        .value_kind:     global_buffer
      - .offset:         80
        .size:           4
        .value_kind:     by_value
      - .address_space:  global
        .offset:         88
        .size:           8
        .value_kind:     global_buffer
      - .address_space:  global
        .offset:         96
        .size:           8
        .value_kind:     global_buffer
    .group_segment_fixed_size: 37856
    .kernarg_segment_align: 8
    .kernarg_segment_size: 104
    .language:       OpenCL C
    .language_version:
      - 2
      - 0
    .max_flat_workgroup_size: 182
    .name:           bluestein_single_back_len1183_dim1_dp_op_CI_CI
    .private_segment_fixed_size: 528
    .sgpr_count:     48
    .sgpr_spill_count: 0
    .symbol:         bluestein_single_back_len1183_dim1_dp_op_CI_CI.kd
    .uniform_work_group_size: 1
    .uses_dynamic_stack: false
    .vgpr_count:     256
    .vgpr_spill_count: 136
    .wavefront_size: 32
    .workgroup_processor_mode: 1
amdhsa.target:   amdgcn-amd-amdhsa--gfx1100
amdhsa.version:
  - 1
  - 2
...

	.end_amdgpu_metadata
